;; amdgpu-corpus repo=ROCm/rocFFT kind=compiled arch=gfx906 opt=O3
	.text
	.amdgcn_target "amdgcn-amd-amdhsa--gfx906"
	.amdhsa_code_object_version 6
	.protected	bluestein_single_fwd_len676_dim1_dp_op_CI_CI ; -- Begin function bluestein_single_fwd_len676_dim1_dp_op_CI_CI
	.globl	bluestein_single_fwd_len676_dim1_dp_op_CI_CI
	.p2align	8
	.type	bluestein_single_fwd_len676_dim1_dp_op_CI_CI,@function
bluestein_single_fwd_len676_dim1_dp_op_CI_CI: ; @bluestein_single_fwd_len676_dim1_dp_op_CI_CI
; %bb.0:
	s_load_dwordx4 s[16:19], s[4:5], 0x28
	s_mov_b64 s[50:51], s[2:3]
	v_mul_u32_u24_e32 v1, 0x4ed, v0
	s_mov_b64 s[48:49], s[0:1]
	v_add_u32_sdwa v208, s6, v1 dst_sel:DWORD dst_unused:UNUSED_PAD src0_sel:DWORD src1_sel:WORD_1
	v_mov_b32_e32 v209, 0
	s_add_u32 s48, s48, s7
	s_waitcnt lgkmcnt(0)
	v_cmp_gt_u64_e32 vcc, s[16:17], v[208:209]
	s_addc_u32 s49, s49, 0
	s_and_saveexec_b64 s[0:1], vcc
	s_cbranch_execz .LBB0_10
; %bb.1:
	s_load_dwordx4 s[0:3], s[4:5], 0x18
	s_load_dwordx4 s[12:15], s[4:5], 0x0
	v_mov_b32_e32 v2, 52
	v_mul_lo_u16_sdwa v1, v1, v2 dst_sel:DWORD dst_unused:UNUSED_PAD src0_sel:WORD_1 src1_sel:DWORD
	v_sub_u16_e32 v216, v0, v1
	s_waitcnt lgkmcnt(0)
	s_load_dwordx4 s[8:11], s[0:1], 0x0
	v_lshlrev_b32_e32 v215, 4, v216
	s_mov_b32 s46, 0x4267c47c
	s_mov_b32 s26, 0x42a4c3d2
	;; [unrolled: 1-line block ×3, first 2 shown]
	s_waitcnt lgkmcnt(0)
	v_mad_u64_u32 v[0:1], s[0:1], s10, v208, 0
	v_mad_u64_u32 v[2:3], s[0:1], s8, v216, 0
	s_mul_hi_u32 s6, s8, 0x340
	s_mul_i32 s7, s8, 0x340
	v_mad_u64_u32 v[4:5], s[0:1], s11, v208, v[1:2]
	s_mov_b32 s22, 0x24c2f84
	s_mov_b32 s36, 0x4bc48dbf
	v_mad_u64_u32 v[5:6], s[0:1], s9, v216, v[3:4]
	v_mov_b32_e32 v1, v4
	v_lshlrev_b64 v[0:1], 4, v[0:1]
	v_mov_b32_e32 v6, s19
	v_mov_b32_e32 v3, v5
	v_add_co_u32_e32 v4, vcc, s18, v0
	v_addc_co_u32_e32 v5, vcc, v6, v1, vcc
	v_lshlrev_b64 v[0:1], 4, v[2:3]
	v_mov_b32_e32 v2, s13
	v_add_co_u32_e32 v0, vcc, v4, v0
	v_addc_co_u32_e32 v1, vcc, v5, v1, vcc
	v_add_co_u32_e32 v178, vcc, s12, v215
	v_addc_co_u32_e64 v4, s[0:1], 0, v2, vcc
	s_mul_i32 s0, s9, 0x340
	s_add_i32 s6, s6, s0
	v_mov_b32_e32 v3, s6
	v_add_co_u32_e64 v2, s[0:1], s7, v0
	v_addc_co_u32_e64 v3, s[0:1], v1, v3, s[0:1]
	global_load_dwordx4 v[52:55], v[0:1], off
	global_load_dwordx4 v[56:59], v[2:3], off
	global_load_dwordx4 v[48:51], v215, s[12:13]
	global_load_dwordx4 v[28:31], v215, s[12:13] offset:832
	v_mov_b32_e32 v1, s6
	v_add_co_u32_e64 v0, s[0:1], s7, v2
	v_addc_co_u32_e64 v1, s[0:1], v3, v1, s[0:1]
	v_mov_b32_e32 v3, s6
	v_add_co_u32_e64 v2, s[0:1], s7, v0
	v_addc_co_u32_e64 v3, s[0:1], v1, v3, s[0:1]
	global_load_dwordx4 v[60:63], v[0:1], off
	global_load_dwordx4 v[64:67], v[2:3], off
	global_load_dwordx4 v[40:43], v215, s[12:13] offset:1664
	global_load_dwordx4 v[20:23], v215, s[12:13] offset:2496
	v_mov_b32_e32 v1, s6
	v_add_co_u32_e64 v0, s[0:1], s7, v2
	v_addc_co_u32_e64 v1, s[0:1], v3, v1, s[0:1]
	global_load_dwordx4 v[68:71], v[0:1], off
	global_load_dwordx4 v[12:15], v215, s[12:13] offset:3328
	v_mov_b32_e32 v2, s6
	v_add_co_u32_e64 v0, s[0:1], s7, v0
	v_addc_co_u32_e64 v1, s[0:1], v1, v2, s[0:1]
	s_movk_i32 s0, 0x1000
	v_add_co_u32_e64 v2, s[0:1], s0, v178
	v_addc_co_u32_e64 v3, s[0:1], 0, v4, s[0:1]
	global_load_dwordx4 v[72:75], v[0:1], off
	v_mov_b32_e32 v5, s6
	v_add_co_u32_e64 v0, s[0:1], s7, v0
	v_addc_co_u32_e64 v1, s[0:1], v1, v5, s[0:1]
	global_load_dwordx4 v[76:79], v[0:1], off
	global_load_dwordx4 v[44:47], v[2:3], off offset:64
	global_load_dwordx4 v[16:19], v[2:3], off offset:896
	v_add_co_u32_e64 v0, s[0:1], s7, v0
	v_addc_co_u32_e64 v1, s[0:1], v1, v5, s[0:1]
	global_load_dwordx4 v[80:83], v[0:1], off
	v_add_co_u32_e64 v0, s[0:1], s7, v0
	v_addc_co_u32_e64 v1, s[0:1], v1, v5, s[0:1]
	global_load_dwordx4 v[84:87], v[0:1], off
	global_load_dwordx4 v[36:39], v[2:3], off offset:1728
	global_load_dwordx4 v[120:123], v[2:3], off offset:2560
	v_add_co_u32_e64 v0, s[0:1], s7, v0
	v_addc_co_u32_e64 v1, s[0:1], v1, v5, s[0:1]
	global_load_dwordx4 v[88:91], v[0:1], off
	global_load_dwordx4 v[5:8], v[2:3], off offset:3392
	v_mov_b32_e32 v2, s6
	v_add_co_u32_e64 v0, s[0:1], s7, v0
	v_addc_co_u32_e64 v1, s[0:1], v1, v2, s[0:1]
	s_movk_i32 s0, 0x2000
	v_add_co_u32_e64 v104, s[0:1], s0, v178
	v_addc_co_u32_e64 v105, s[0:1], 0, v4, s[0:1]
	v_add_co_u32_e64 v24, s[0:1], s7, v0
	v_addc_co_u32_e64 v25, s[0:1], v1, v2, s[0:1]
	global_load_dwordx4 v[92:95], v[0:1], off
	global_load_dwordx4 v[96:99], v[24:25], off
	global_load_dwordx4 v[32:35], v[104:105], off offset:128
	s_nop 0
	global_load_dwordx4 v[1:4], v[104:105], off offset:960
	v_mov_b32_e32 v0, s6
	v_add_co_u32_e64 v106, s[0:1], s7, v24
	v_addc_co_u32_e64 v107, s[0:1], v25, v0, s[0:1]
	global_load_dwordx4 v[100:103], v[106:107], off
	global_load_dwordx4 v[24:27], v[104:105], off offset:1792
	s_load_dwordx4 s[8:11], s[2:3], 0x0
	s_mov_b32 s18, 0x2ef20147
	s_mov_b32 s47, 0xbfddbe06
	s_mov_b32 s27, 0xbfea55e2
	s_mov_b32 s31, 0xbfefc445
	s_mov_b32 s19, 0xbfedeba7
	s_mov_b32 s23, 0xbfe5384d
	s_waitcnt vmcnt(23)
	v_mul_f64 v[104:105], v[54:55], v[50:51]
	v_mul_f64 v[106:107], v[52:53], v[50:51]
	s_waitcnt vmcnt(22)
	v_mul_f64 v[108:109], v[58:59], v[30:31]
	s_mov_b32 s37, 0xbfcea1e5
	s_mov_b32 s16, 0xe00740e9
	s_mov_b32 s6, 0x1ea71119
	s_mov_b32 s0, 0xebaa3ed8
	s_mov_b32 s2, 0xb2365da1
	v_fma_f64 v[52:53], v[52:53], v[48:49], v[104:105]
	v_mul_f64 v[104:105], v[56:57], v[30:31]
	v_fma_f64 v[54:55], v[54:55], v[48:49], -v[106:107]
	s_waitcnt vmcnt(19)
	v_mul_f64 v[106:107], v[62:63], v[42:43]
	v_mul_f64 v[110:111], v[60:61], v[42:43]
	s_waitcnt vmcnt(18)
	v_mul_f64 v[112:113], v[66:67], v[22:23]
	v_mul_f64 v[114:115], v[64:65], v[22:23]
	v_fma_f64 v[56:57], v[56:57], v[28:29], v[108:109]
	s_mov_b32 s20, 0xd0032e0c
	v_fma_f64 v[58:59], v[58:59], v[28:29], -v[104:105]
	s_waitcnt vmcnt(16)
	v_mul_f64 v[116:117], v[70:71], v[14:15]
	v_mul_f64 v[118:119], v[68:69], v[14:15]
	v_fma_f64 v[60:61], v[60:61], v[40:41], v[106:107]
	v_fma_f64 v[62:63], v[62:63], v[40:41], -v[110:111]
	v_fma_f64 v[64:65], v[64:65], v[20:21], v[112:113]
	v_fma_f64 v[66:67], v[66:67], v[20:21], -v[114:115]
	s_mov_b32 s24, 0x93053d00
	s_mov_b32 s17, 0x3fec55a7
	v_fma_f64 v[68:69], v[68:69], v[12:13], v[116:117]
	v_fma_f64 v[70:71], v[70:71], v[12:13], -v[118:119]
	ds_write_b128 v215, v[52:55]
	ds_write_b128 v215, v[56:59] offset:832
	ds_write_b128 v215, v[60:63] offset:1664
	;; [unrolled: 1-line block ×4, first 2 shown]
	s_mov_b32 s7, 0x3fe22d96
	s_mov_b32 s1, 0x3fbedb7d
	s_waitcnt vmcnt(13)
	v_mul_f64 v[52:53], v[74:75], v[46:47]
	s_waitcnt vmcnt(12)
	v_mul_f64 v[56:57], v[78:79], v[18:19]
	v_mul_f64 v[58:59], v[76:77], v[18:19]
	;; [unrolled: 1-line block ×3, first 2 shown]
	s_mov_b32 s3, 0xbfd6b1d8
	s_mov_b32 s21, 0xbfe7f3cc
	;; [unrolled: 1-line block ×4, first 2 shown]
	v_fma_f64 v[52:53], v[72:73], v[44:45], v[52:53]
	v_fma_f64 v[56:57], v[76:77], v[16:17], v[56:57]
	v_fma_f64 v[58:59], v[78:79], v[16:17], -v[58:59]
	s_waitcnt vmcnt(8)
	v_mul_f64 v[64:65], v[86:87], v[122:123]
	v_mul_f64 v[66:67], v[84:85], v[122:123]
	;; [unrolled: 1-line block ×4, first 2 shown]
	v_fma_f64 v[54:55], v[74:75], v[44:45], -v[54:55]
	s_waitcnt vmcnt(6)
	v_mul_f64 v[68:69], v[90:91], v[7:8]
	v_mul_f64 v[70:71], v[88:89], v[7:8]
	s_mov_b32 s38, s22
	v_fma_f64 v[64:65], v[84:85], v[120:121], v[64:65]
	buffer_store_dword v120, off, s[48:51], 0 offset:32 ; 4-byte Folded Spill
	s_nop 0
	buffer_store_dword v121, off, s[48:51], 0 offset:36 ; 4-byte Folded Spill
	buffer_store_dword v122, off, s[48:51], 0 offset:40 ; 4-byte Folded Spill
	;; [unrolled: 1-line block ×3, first 2 shown]
	v_fma_f64 v[60:61], v[80:81], v[36:37], v[60:61]
	v_fma_f64 v[62:63], v[82:83], v[36:37], -v[62:63]
	s_mov_b32 s29, 0x3fefc445
	v_fma_f64 v[68:69], v[88:89], v[5:6], v[68:69]
	buffer_store_dword v5, off, s[48:51], 0 offset:16 ; 4-byte Folded Spill
	s_nop 0
	buffer_store_dword v6, off, s[48:51], 0 offset:20 ; 4-byte Folded Spill
	buffer_store_dword v7, off, s[48:51], 0 offset:24 ; 4-byte Folded Spill
	;; [unrolled: 1-line block ×3, first 2 shown]
	s_mov_b32 s28, s30
	s_mov_b32 s35, 0x3fddbe06
	;; [unrolled: 1-line block ×5, first 2 shown]
	s_waitcnt vmcnt(11)
	v_mul_f64 v[72:73], v[94:95], v[34:35]
	s_waitcnt vmcnt(10)
	v_mul_f64 v[76:77], v[98:99], v[3:4]
	v_mul_f64 v[78:79], v[96:97], v[3:4]
	;; [unrolled: 1-line block ×3, first 2 shown]
	s_mov_b32 s43, 0x3fcea1e5
	s_mov_b32 s42, s36
	;; [unrolled: 1-line block ×3, first 2 shown]
	s_waitcnt vmcnt(8)
	v_mul_f64 v[80:81], v[102:103], v[26:27]
	v_mul_f64 v[82:83], v[100:101], v[26:27]
	v_fma_f64 v[76:77], v[96:97], v[1:2], v[76:77]
	buffer_store_dword v1, off, s[48:51], 0 ; 4-byte Folded Spill
	s_nop 0
	buffer_store_dword v2, off, s[48:51], 0 offset:4 ; 4-byte Folded Spill
	buffer_store_dword v3, off, s[48:51], 0 offset:8 ; 4-byte Folded Spill
	;; [unrolled: 1-line block ×3, first 2 shown]
	v_fma_f64 v[72:73], v[92:93], v[32:33], v[72:73]
	v_fma_f64 v[74:75], v[94:95], v[32:33], -v[74:75]
	s_mov_b32 s40, s26
	v_mul_lo_u16_e32 v0, 13, v216
	v_fma_f64 v[80:81], v[100:101], v[24:25], v[80:81]
	v_fma_f64 v[82:83], v[102:103], v[24:25], -v[82:83]
	s_movk_i32 s12, 0x4f
	v_lshlrev_b32_e32 v218, 4, v0
	v_mul_lo_u16_sdwa v0, v216, s12 dst_sel:DWORD dst_unused:UNUSED_PAD src0_sel:BYTE_0 src1_sel:DWORD
	s_load_dwordx2 s[4:5], s[4:5], 0x38
	v_fma_f64 v[66:67], v[86:87], v[120:121], -v[66:67]
	v_fma_f64 v[70:71], v[90:91], v[5:6], -v[70:71]
	;; [unrolled: 1-line block ×3, first 2 shown]
	ds_write_b128 v215, v[52:55] offset:4160
	ds_write_b128 v215, v[56:59] offset:4992
	;; [unrolled: 1-line block ×8, first 2 shown]
	s_waitcnt lgkmcnt(0)
	; wave barrier
	s_waitcnt lgkmcnt(0)
	ds_read_b128 v[56:59], v215
	ds_read_b128 v[60:63], v215 offset:832
	ds_read_b128 v[68:71], v215 offset:1664
	;; [unrolled: 1-line block ×9, first 2 shown]
	s_waitcnt lgkmcnt(8)
	v_add_f64 v[52:53], v[56:57], v[60:61]
	v_add_f64 v[54:55], v[58:59], v[62:63]
	ds_read_b128 v[80:83], v215 offset:8320
	ds_read_b128 v[72:75], v215 offset:9152
	;; [unrolled: 1-line block ×3, first 2 shown]
	s_waitcnt lgkmcnt(0)
	; wave barrier
	s_waitcnt lgkmcnt(0)
	v_add_f64 v[52:53], v[52:53], v[68:69]
	v_add_f64 v[54:55], v[54:55], v[70:71]
	v_add_f64 v[108:109], v[62:63], -v[66:67]
	v_add_f64 v[110:111], v[60:61], v[64:65]
	v_add_f64 v[60:61], v[60:61], -v[64:65]
	v_add_f64 v[62:63], v[62:63], v[66:67]
	v_add_f64 v[52:53], v[52:53], v[76:77]
	;; [unrolled: 1-line block ×3, first 2 shown]
	v_mul_f64 v[112:113], v[108:109], s[46:47]
	v_mul_f64 v[114:115], v[108:109], s[30:31]
	;; [unrolled: 1-line block ×6, first 2 shown]
	v_add_f64 v[52:53], v[52:53], v[84:85]
	v_add_f64 v[54:55], v[54:55], v[86:87]
	v_mul_f64 v[136:137], v[60:61], s[18:19]
	v_fma_f64 v[118:119], v[110:111], s[0:1], -v[114:115]
	v_fma_f64 v[114:115], v[110:111], s[0:1], v[114:115]
	v_fma_f64 v[124:125], v[110:111], s[2:3], -v[120:121]
	v_fma_f64 v[120:121], v[110:111], s[2:3], v[120:121]
	v_fma_f64 v[126:127], v[110:111], s[20:21], -v[122:123]
	v_add_f64 v[52:53], v[52:53], v[92:93]
	v_add_f64 v[54:55], v[54:55], v[94:95]
	v_fma_f64 v[122:123], v[110:111], s[20:21], v[122:123]
	v_fma_f64 v[134:135], v[62:63], s[16:17], v[128:129]
	v_mul_f64 v[138:139], v[60:61], s[22:23]
	v_fma_f64 v[128:129], v[62:63], s[16:17], -v[128:129]
	v_fma_f64 v[140:141], v[62:63], s[6:7], v[132:133]
	v_fma_f64 v[132:133], v[62:63], s[6:7], -v[132:133]
	v_add_f64 v[52:53], v[52:53], v[100:101]
	v_add_f64 v[54:55], v[54:55], v[102:103]
	v_fma_f64 v[144:145], v[62:63], s[2:3], v[136:137]
	v_fma_f64 v[136:137], v[62:63], s[2:3], -v[136:137]
	v_fma_f64 v[146:147], v[62:63], s[20:21], v[138:139]
	v_fma_f64 v[138:139], v[62:63], s[20:21], -v[138:139]
	v_add_f64 v[160:161], v[56:57], v[114:115]
	v_add_f64 v[164:165], v[56:57], v[120:121]
	;; [unrolled: 1-line block ×25, first 2 shown]
	v_add_f64 v[68:69], v[68:69], -v[72:73]
	v_add_f64 v[72:73], v[76:77], v[80:81]
	v_add_f64 v[76:77], v[76:77], -v[80:81]
	v_add_f64 v[80:81], v[84:85], v[88:89]
	;; [unrolled: 2-line block ×4, first 2 shown]
	v_add_f64 v[100:101], v[100:101], -v[104:105]
	v_mul_f64 v[104:105], v[108:109], s[26:27]
	v_mul_f64 v[108:109], v[108:109], s[36:37]
	v_add_f64 v[54:55], v[54:55], v[66:67]
	v_add_f64 v[66:67], v[70:71], v[74:75]
	v_add_f64 v[70:71], v[70:71], -v[74:75]
	v_add_f64 v[74:75], v[78:79], v[82:83]
	v_add_f64 v[78:79], v[78:79], -v[82:83]
	;; [unrolled: 2-line block ×5, first 2 shown]
	v_fma_f64 v[106:107], v[110:111], s[16:17], -v[112:113]
	v_fma_f64 v[112:113], v[110:111], s[16:17], v[112:113]
	v_fma_f64 v[116:117], v[110:111], s[6:7], -v[104:105]
	v_fma_f64 v[104:105], v[110:111], s[6:7], v[104:105]
	;; [unrolled: 2-line block ×3, first 2 shown]
	v_mul_f64 v[110:111], v[60:61], s[30:31]
	v_mul_f64 v[60:61], v[60:61], s[36:37]
	;; [unrolled: 1-line block ×5, first 2 shown]
	v_add_f64 v[152:153], v[56:57], v[104:105]
	v_mul_f64 v[114:115], v[86:87], s[18:19]
	v_mul_f64 v[120:121], v[94:95], s[22:23]
	v_fma_f64 v[142:143], v[62:63], s[0:1], v[110:111]
	v_fma_f64 v[110:111], v[62:63], s[0:1], -v[110:111]
	v_fma_f64 v[148:149], v[62:63], s[24:25], v[60:61]
	v_fma_f64 v[60:61], v[62:63], s[24:25], -v[60:61]
	v_add_f64 v[62:63], v[56:57], v[106:107]
	v_add_f64 v[106:107], v[58:59], v[134:135]
	v_mul_f64 v[134:135], v[70:71], s[26:27]
	v_fma_f64 v[154:155], v[66:67], s[6:7], v[150:151]
	v_mul_f64 v[166:167], v[92:93], s[22:23]
	v_add_f64 v[162:163], v[58:59], v[110:111]
	v_fma_f64 v[110:111], v[74:75], s[0:1], v[158:159]
	v_add_f64 v[112:113], v[56:57], v[112:113]
	v_add_f64 v[116:117], v[56:57], v[116:117]
	;; [unrolled: 1-line block ×3, first 2 shown]
	v_fma_f64 v[104:105], v[64:65], s[6:7], -v[134:135]
	v_fma_f64 v[126:127], v[88:89], s[20:21], -v[120:121]
	v_fma_f64 v[172:173], v[90:91], s[20:21], v[166:167]
	v_add_f64 v[108:109], v[56:57], v[108:109]
	v_mul_f64 v[174:175], v[76:77], s[36:37]
	v_add_f64 v[62:63], v[104:105], v[62:63]
	v_add_f64 v[104:105], v[154:155], v[106:107]
	v_fma_f64 v[106:107], v[72:73], s[0:1], -v[156:157]
	v_mul_f64 v[154:155], v[84:85], s[18:19]
	v_add_f64 v[104:105], v[110:111], v[104:105]
	v_add_f64 v[62:63], v[106:107], v[62:63]
	v_fma_f64 v[106:107], v[80:81], s[2:3], -v[114:115]
	v_fma_f64 v[110:111], v[82:83], s[2:3], v[154:155]
	v_add_f64 v[62:63], v[106:107], v[62:63]
	v_add_f64 v[122:123], v[110:111], v[104:105]
	;; [unrolled: 1-line block ×5, first 2 shown]
	v_fma_f64 v[56:57], v[64:65], s[6:7], v[134:135]
	v_fma_f64 v[58:59], v[66:67], s[6:7], -v[150:151]
	v_mul_f64 v[130:131], v[70:71], s[18:19]
	v_mul_f64 v[134:135], v[68:69], s[18:19]
	v_add_f64 v[60:61], v[126:127], v[62:63]
	v_add_f64 v[62:63], v[172:173], v[122:123]
	v_mul_f64 v[172:173], v[78:79], s[36:37]
	v_mul_f64 v[122:123], v[102:103], s[36:37]
	v_add_f64 v[56:57], v[56:57], v[112:113]
	v_add_f64 v[58:59], v[58:59], v[128:129]
	v_fma_f64 v[112:113], v[72:73], s[0:1], v[156:157]
	v_fma_f64 v[128:129], v[74:75], s[0:1], -v[158:159]
	v_fma_f64 v[156:157], v[64:65], s[2:3], -v[130:131]
	v_fma_f64 v[158:159], v[66:67], s[2:3], v[134:135]
	v_mul_f64 v[126:127], v[100:101], s[36:37]
	v_fma_f64 v[148:149], v[96:97], s[24:25], -v[122:123]
	v_fma_f64 v[130:131], v[64:65], s[2:3], v[130:131]
	v_fma_f64 v[134:135], v[66:67], s[2:3], -v[134:135]
	v_add_f64 v[56:57], v[112:113], v[56:57]
	v_add_f64 v[58:59], v[128:129], v[58:59]
	v_fma_f64 v[112:113], v[80:81], s[2:3], v[114:115]
	v_fma_f64 v[114:115], v[82:83], s[2:3], -v[154:155]
	v_add_f64 v[116:117], v[156:157], v[116:117]
	v_add_f64 v[128:129], v[158:159], v[140:141]
	v_fma_f64 v[140:141], v[72:73], s[24:25], -v[172:173]
	v_fma_f64 v[154:155], v[74:75], s[24:25], v[174:175]
	v_mul_f64 v[156:157], v[86:87], s[38:39]
	v_mul_f64 v[158:159], v[84:85], s[38:39]
	v_add_f64 v[56:57], v[112:113], v[56:57]
	v_add_f64 v[58:59], v[114:115], v[58:59]
	v_fma_f64 v[112:113], v[88:89], s[20:21], v[120:121]
	v_fma_f64 v[114:115], v[90:91], s[20:21], -v[166:167]
	v_add_f64 v[116:117], v[140:141], v[116:117]
	v_add_f64 v[120:121], v[154:155], v[128:129]
	v_fma_f64 v[128:129], v[80:81], s[20:21], -v[156:157]
	v_fma_f64 v[140:141], v[82:83], s[20:21], v[158:159]
	v_mul_f64 v[154:155], v[94:95], s[28:29]
	v_mul_f64 v[166:167], v[92:93], s[28:29]
	v_add_f64 v[56:57], v[112:113], v[56:57]
	v_add_f64 v[58:59], v[114:115], v[58:59]
	v_fma_f64 v[150:151], v[98:99], s[24:25], v[126:127]
	v_add_f64 v[60:61], v[148:149], v[60:61]
	v_add_f64 v[112:113], v[128:129], v[116:117]
	;; [unrolled: 1-line block ×3, first 2 shown]
	v_fma_f64 v[116:117], v[88:89], s[0:1], -v[154:155]
	v_fma_f64 v[120:121], v[90:91], s[0:1], v[166:167]
	v_mul_f64 v[128:129], v[102:103], s[34:35]
	v_mul_f64 v[140:141], v[100:101], s[34:35]
	v_fma_f64 v[122:123], v[96:97], s[24:25], v[122:123]
	v_fma_f64 v[126:127], v[98:99], s[24:25], -v[126:127]
	v_add_f64 v[130:131], v[130:131], v[152:153]
	v_add_f64 v[132:133], v[134:135], v[132:133]
	;; [unrolled: 1-line block ×4, first 2 shown]
	v_fma_f64 v[116:117], v[96:97], s[16:17], -v[128:129]
	v_fma_f64 v[120:121], v[98:99], s[16:17], v[140:141]
	v_fma_f64 v[134:135], v[72:73], s[24:25], v[172:173]
	v_fma_f64 v[148:149], v[74:75], s[24:25], -v[174:175]
	v_add_f64 v[56:57], v[122:123], v[56:57]
	v_add_f64 v[58:59], v[126:127], v[58:59]
	v_mul_f64 v[122:123], v[70:71], s[36:37]
	v_mul_f64 v[126:127], v[68:69], s[36:37]
	v_add_f64 v[112:113], v[116:117], v[112:113]
	v_add_f64 v[114:115], v[120:121], v[114:115]
	;; [unrolled: 1-line block ×4, first 2 shown]
	v_fma_f64 v[130:131], v[80:81], s[20:21], v[156:157]
	v_fma_f64 v[132:133], v[82:83], s[20:21], -v[158:159]
	v_add_f64 v[62:63], v[150:151], v[62:63]
	v_fma_f64 v[134:135], v[64:65], s[24:25], -v[122:123]
	v_fma_f64 v[148:149], v[66:67], s[24:25], v[126:127]
	v_mul_f64 v[150:151], v[78:79], s[44:45]
	v_mul_f64 v[152:153], v[76:77], s[44:45]
	;; [unrolled: 1-line block ×3, first 2 shown]
	v_add_f64 v[116:117], v[130:131], v[116:117]
	v_add_f64 v[120:121], v[132:133], v[120:121]
	v_fma_f64 v[130:131], v[88:89], s[0:1], v[154:155]
	v_fma_f64 v[132:133], v[90:91], s[0:1], -v[166:167]
	v_add_f64 v[118:119], v[134:135], v[118:119]
	v_add_f64 v[134:135], v[148:149], v[142:143]
	v_fma_f64 v[142:143], v[72:73], s[2:3], -v[150:151]
	v_fma_f64 v[148:149], v[74:75], s[2:3], v[152:153]
	v_mul_f64 v[154:155], v[86:87], s[34:35]
	v_fma_f64 v[128:129], v[96:97], s[16:17], v[128:129]
	v_add_f64 v[116:117], v[130:131], v[116:117]
	v_add_f64 v[120:121], v[132:133], v[120:121]
	v_fma_f64 v[130:131], v[98:99], s[16:17], -v[140:141]
	v_mul_f64 v[158:159], v[92:93], s[26:27]
	v_add_f64 v[132:133], v[142:143], v[118:119]
	v_add_f64 v[134:135], v[148:149], v[134:135]
	v_fma_f64 v[140:141], v[80:81], s[16:17], -v[154:155]
	v_fma_f64 v[142:143], v[82:83], s[16:17], v[156:157]
	v_mul_f64 v[148:149], v[94:95], s[26:27]
	v_add_f64 v[116:117], v[128:129], v[116:117]
	v_add_f64 v[118:119], v[130:131], v[120:121]
	v_fma_f64 v[120:121], v[64:65], s[24:25], v[122:123]
	v_fma_f64 v[122:123], v[66:67], s[24:25], -v[126:127]
	v_fma_f64 v[154:155], v[80:81], s[16:17], v[154:155]
	v_add_f64 v[126:127], v[140:141], v[132:133]
	v_add_f64 v[128:129], v[142:143], v[134:135]
	v_fma_f64 v[130:131], v[88:89], s[6:7], -v[148:149]
	v_fma_f64 v[132:133], v[90:91], s[6:7], v[158:159]
	v_mul_f64 v[134:135], v[102:103], s[22:23]
	v_mul_f64 v[140:141], v[100:101], s[22:23]
	v_add_f64 v[120:121], v[120:121], v[160:161]
	v_add_f64 v[122:123], v[122:123], v[162:163]
	v_fma_f64 v[142:143], v[72:73], s[2:3], v[150:151]
	v_fma_f64 v[150:151], v[74:75], s[2:3], -v[152:153]
	v_add_f64 v[126:127], v[130:131], v[126:127]
	v_add_f64 v[128:129], v[132:133], v[128:129]
	v_fma_f64 v[130:131], v[96:97], s[20:21], -v[134:135]
	v_fma_f64 v[132:133], v[98:99], s[20:21], v[140:141]
	v_mul_f64 v[152:153], v[70:71], s[38:39]
	v_mul_f64 v[160:161], v[68:69], s[38:39]
	v_add_f64 v[142:143], v[142:143], v[120:121]
	v_add_f64 v[150:151], v[150:151], v[122:123]
	v_fma_f64 v[156:157], v[82:83], s[16:17], -v[156:157]
	v_fma_f64 v[148:149], v[88:89], s[6:7], v[148:149]
	v_add_f64 v[120:121], v[130:131], v[126:127]
	v_add_f64 v[122:123], v[132:133], v[128:129]
	v_fma_f64 v[126:127], v[64:65], s[20:21], -v[152:153]
	v_fma_f64 v[128:129], v[66:67], s[20:21], v[160:161]
	v_mul_f64 v[130:131], v[78:79], s[34:35]
	v_mul_f64 v[132:133], v[76:77], s[34:35]
	v_add_f64 v[142:143], v[154:155], v[142:143]
	v_add_f64 v[150:151], v[156:157], v[150:151]
	v_fma_f64 v[154:155], v[90:91], s[6:7], -v[158:159]
	v_mul_f64 v[156:157], v[86:87], s[30:31]
	v_add_f64 v[124:125], v[126:127], v[124:125]
	v_add_f64 v[126:127], v[128:129], v[144:145]
	v_fma_f64 v[128:129], v[72:73], s[16:17], -v[130:131]
	v_fma_f64 v[144:145], v[74:75], s[16:17], v[132:133]
	v_mul_f64 v[158:159], v[84:85], s[30:31]
	v_add_f64 v[142:143], v[148:149], v[142:143]
	v_add_f64 v[148:149], v[154:155], v[150:151]
	v_fma_f64 v[134:135], v[96:97], s[20:21], v[134:135]
	v_fma_f64 v[140:141], v[98:99], s[20:21], -v[140:141]
	v_fma_f64 v[150:151], v[80:81], s[0:1], -v[156:157]
	v_add_f64 v[128:129], v[128:129], v[124:125]
	v_add_f64 v[144:145], v[144:145], v[126:127]
	v_fma_f64 v[154:155], v[82:83], s[0:1], v[158:159]
	v_mul_f64 v[162:163], v[94:95], s[42:43]
	v_mul_f64 v[166:167], v[92:93], s[42:43]
	v_add_f64 v[124:125], v[134:135], v[142:143]
	v_add_f64 v[126:127], v[140:141], v[148:149]
	v_fma_f64 v[140:141], v[64:65], s[20:21], v[152:153]
	v_fma_f64 v[142:143], v[66:67], s[20:21], -v[160:161]
	v_add_f64 v[128:129], v[150:151], v[128:129]
	v_add_f64 v[134:135], v[154:155], v[144:145]
	v_fma_f64 v[144:145], v[88:89], s[24:25], -v[162:163]
	v_fma_f64 v[148:149], v[90:91], s[24:25], v[166:167]
	v_mul_f64 v[150:151], v[102:103], s[40:41]
	v_mul_f64 v[152:153], v[100:101], s[40:41]
	v_add_f64 v[140:141], v[140:141], v[164:165]
	v_add_f64 v[136:137], v[142:143], v[136:137]
	v_fma_f64 v[130:131], v[72:73], s[16:17], v[130:131]
	v_fma_f64 v[132:133], v[74:75], s[16:17], -v[132:133]
	v_add_f64 v[128:129], v[144:145], v[128:129]
	v_add_f64 v[134:135], v[148:149], v[134:135]
	v_fma_f64 v[142:143], v[96:97], s[6:7], -v[150:151]
	;; [unrolled: 10-line block ×4, first 2 shown]
	v_fma_f64 v[160:161], v[74:75], s[6:7], v[158:159]
	v_mul_f64 v[164:165], v[84:85], s[42:43]
	v_mul_f64 v[70:71], v[70:71], s[34:35]
	v_add_f64 v[136:137], v[140:141], v[136:137]
	v_add_f64 v[140:141], v[156:157], v[132:133]
	v_fma_f64 v[132:133], v[96:97], s[6:7], v[150:151]
	v_fma_f64 v[150:151], v[98:99], s[6:7], -v[152:153]
	v_add_f64 v[146:147], v[146:147], v[134:135]
	v_add_f64 v[142:143], v[160:161], v[142:143]
	v_fma_f64 v[156:157], v[82:83], s[24:25], v[164:165]
	v_mul_f64 v[68:69], v[68:69], s[34:35]
	v_mul_f64 v[162:163], v[86:87], s[42:43]
	;; [unrolled: 1-line block ×3, first 2 shown]
	v_add_f64 v[132:133], v[132:133], v[136:137]
	v_add_f64 v[134:135], v[150:151], v[140:141]
	v_fma_f64 v[136:137], v[64:65], s[0:1], v[148:149]
	v_fma_f64 v[140:141], v[66:67], s[0:1], -v[154:155]
	v_add_f64 v[142:143], v[156:157], v[142:143]
	v_fma_f64 v[156:157], v[64:65], s[16:17], -v[70:71]
	v_fma_f64 v[64:65], v[64:65], s[16:17], v[70:71]
	v_mul_f64 v[70:71], v[76:77], s[22:23]
	v_mul_f64 v[166:167], v[92:93], s[34:35]
	v_fma_f64 v[152:153], v[80:81], s[24:25], -v[162:163]
	v_add_f64 v[136:137], v[136:137], v[170:171]
	v_add_f64 v[138:139], v[140:141], v[138:139]
	v_fma_f64 v[140:141], v[72:73], s[6:7], v[144:145]
	v_fma_f64 v[144:145], v[74:75], s[6:7], -v[158:159]
	v_fma_f64 v[158:159], v[66:67], s[16:17], v[68:69]
	v_fma_f64 v[66:67], v[66:67], s[16:17], -v[68:69]
	v_mul_f64 v[68:69], v[78:79], s[22:23]
	v_add_f64 v[104:105], v[156:157], v[104:105]
	v_add_f64 v[64:65], v[64:65], v[108:109]
	;; [unrolled: 1-line block ×5, first 2 shown]
	v_fma_f64 v[140:141], v[80:81], s[24:25], v[162:163]
	v_fma_f64 v[144:145], v[82:83], s[24:25], -v[164:165]
	v_add_f64 v[106:107], v[158:159], v[106:107]
	v_add_f64 v[66:67], v[66:67], v[110:111]
	v_fma_f64 v[108:109], v[72:73], s[20:21], -v[68:69]
	v_fma_f64 v[110:111], v[74:75], s[20:21], v[70:71]
	v_fma_f64 v[68:69], v[72:73], s[20:21], v[68:69]
	v_fma_f64 v[70:71], v[74:75], s[20:21], -v[70:71]
	v_mul_f64 v[72:73], v[86:87], s[40:41]
	v_mul_f64 v[74:75], v[84:85], s[40:41]
	v_add_f64 v[76:77], v[140:141], v[136:137]
	v_add_f64 v[78:79], v[144:145], v[138:139]
	v_fma_f64 v[84:85], v[88:89], s[16:17], v[160:161]
	v_fma_f64 v[86:87], v[90:91], s[16:17], -v[166:167]
	v_add_f64 v[104:105], v[108:109], v[104:105]
	v_add_f64 v[106:107], v[110:111], v[106:107]
	v_add_f64 v[64:65], v[68:69], v[64:65]
	v_add_f64 v[66:67], v[70:71], v[66:67]
	v_fma_f64 v[68:69], v[80:81], s[6:7], -v[72:73]
	v_fma_f64 v[70:71], v[82:83], s[6:7], v[74:75]
	v_fma_f64 v[72:73], v[80:81], s[6:7], v[72:73]
	v_fma_f64 v[74:75], v[82:83], s[6:7], -v[74:75]
	v_mul_f64 v[80:81], v[94:95], s[18:19]
	v_mul_f64 v[82:83], v[92:93], s[18:19]
	v_fma_f64 v[148:149], v[88:89], s[16:17], -v[160:161]
	v_fma_f64 v[150:151], v[90:91], s[16:17], v[166:167]
	v_mul_f64 v[152:153], v[102:103], s[18:19]
	v_mul_f64 v[154:155], v[100:101], s[18:19]
	v_add_f64 v[76:77], v[84:85], v[76:77]
	v_add_f64 v[78:79], v[86:87], v[78:79]
	;; [unrolled: 1-line block ×6, first 2 shown]
	v_fma_f64 v[72:73], v[88:89], s[2:3], -v[80:81]
	v_fma_f64 v[74:75], v[90:91], s[2:3], v[82:83]
	v_mul_f64 v[84:85], v[102:103], s[28:29]
	v_mul_f64 v[86:87], v[100:101], s[28:29]
	v_fma_f64 v[80:81], v[88:89], s[2:3], v[80:81]
	v_fma_f64 v[82:83], v[90:91], s[2:3], -v[82:83]
	v_add_f64 v[146:147], v[148:149], v[146:147]
	v_add_f64 v[142:143], v[150:151], v[142:143]
	v_fma_f64 v[148:149], v[96:97], s[2:3], -v[152:153]
	v_fma_f64 v[150:151], v[98:99], s[2:3], v[154:155]
	v_add_f64 v[72:73], v[72:73], v[68:69]
	v_add_f64 v[74:75], v[74:75], v[70:71]
	v_fma_f64 v[92:93], v[96:97], s[0:1], -v[84:85]
	v_fma_f64 v[94:95], v[98:99], s[0:1], v[86:87]
	v_fma_f64 v[88:89], v[96:97], s[2:3], v[152:153]
	v_fma_f64 v[90:91], v[98:99], s[2:3], -v[154:155]
	v_add_f64 v[80:81], v[80:81], v[64:65]
	v_add_f64 v[82:83], v[82:83], v[66:67]
	v_fma_f64 v[84:85], v[96:97], s[0:1], v[84:85]
	v_fma_f64 v[86:87], v[98:99], s[0:1], -v[86:87]
	v_lshrrev_b16_e32 v106, 10, v0
	v_mul_lo_u16_e32 v0, 13, v106
	v_sub_u16_e32 v0, v216, v0
	v_add_f64 v[64:65], v[148:149], v[146:147]
	v_add_f64 v[66:67], v[150:151], v[142:143]
	v_and_b32_e32 v107, 0xff, v0
	v_add_f64 v[72:73], v[92:93], v[72:73]
	v_add_f64 v[74:75], v[94:95], v[74:75]
	v_mul_u32_u24_e32 v0, 12, v107
	v_add_f64 v[68:69], v[88:89], v[76:77]
	v_add_f64 v[70:71], v[90:91], v[78:79]
	;; [unrolled: 1-line block ×4, first 2 shown]
	v_lshlrev_b32_e32 v0, 4, v0
	ds_write_b128 v218, v[52:55]
	ds_write_b128 v218, v[60:63] offset:16
	ds_write_b128 v218, v[112:115] offset:32
	;; [unrolled: 1-line block ×12, first 2 shown]
	s_waitcnt lgkmcnt(0)
	; wave barrier
	s_waitcnt lgkmcnt(0)
	global_load_dwordx4 v[124:127], v0, s[14:15]
	global_load_dwordx4 v[120:123], v0, s[14:15] offset:16
	global_load_dwordx4 v[116:119], v0, s[14:15] offset:32
	;; [unrolled: 1-line block ×9, first 2 shown]
	ds_read_b128 v[52:55], v215 offset:832
	global_load_dwordx4 v[152:155], v0, s[14:15] offset:160
	global_load_dwordx4 v[156:159], v0, s[14:15] offset:176
	ds_read_b128 v[80:83], v215
	ds_read_b128 v[56:59], v215 offset:1664
	ds_read_b128 v[60:63], v215 offset:2496
	v_mul_u32_u24_e32 v0, 0xa9, v106
	v_add_lshl_u32 v217, v0, v107, 4
	s_waitcnt vmcnt(11) lgkmcnt(3)
	v_mul_f64 v[64:65], v[54:55], v[126:127]
	v_mul_f64 v[66:67], v[52:53], v[126:127]
	s_waitcnt vmcnt(10) lgkmcnt(1)
	v_mul_f64 v[68:69], v[58:59], v[122:123]
	v_mul_f64 v[70:71], v[56:57], v[122:123]
	v_fma_f64 v[64:65], v[52:53], v[124:125], -v[64:65]
	v_fma_f64 v[66:67], v[54:55], v[124:125], v[66:67]
	ds_read_b128 v[52:55], v215 offset:3328
	s_waitcnt vmcnt(9) lgkmcnt(1)
	v_mul_f64 v[72:73], v[62:63], v[118:119]
	v_mul_f64 v[74:75], v[60:61], v[118:119]
	v_fma_f64 v[68:69], v[56:57], v[120:121], -v[68:69]
	v_fma_f64 v[70:71], v[58:59], v[120:121], v[70:71]
	s_waitcnt vmcnt(8) lgkmcnt(0)
	v_mul_f64 v[84:85], v[54:55], v[114:115]
	v_add_f64 v[76:77], v[80:81], v[64:65]
	v_add_f64 v[78:79], v[82:83], v[66:67]
	v_mul_f64 v[86:87], v[52:53], v[114:115]
	v_fma_f64 v[72:73], v[60:61], v[116:117], -v[72:73]
	v_fma_f64 v[74:75], v[62:63], v[116:117], v[74:75]
	ds_read_b128 v[56:59], v215 offset:4160
	ds_read_b128 v[60:63], v215 offset:4992
	v_fma_f64 v[84:85], v[52:53], v[112:113], -v[84:85]
	v_add_f64 v[76:77], v[76:77], v[68:69]
	v_add_f64 v[78:79], v[78:79], v[70:71]
	s_waitcnt vmcnt(7) lgkmcnt(1)
	v_mul_f64 v[88:89], v[58:59], v[138:139]
	v_mul_f64 v[90:91], v[56:57], v[138:139]
	v_fma_f64 v[86:87], v[54:55], v[112:113], v[86:87]
	s_waitcnt vmcnt(6) lgkmcnt(0)
	v_mul_f64 v[92:93], v[62:63], v[134:135]
	ds_read_b128 v[52:55], v215 offset:5824
	v_add_f64 v[76:77], v[76:77], v[72:73]
	v_add_f64 v[78:79], v[78:79], v[74:75]
	v_fma_f64 v[102:103], v[56:57], v[136:137], -v[88:89]
	v_fma_f64 v[108:109], v[58:59], v[136:137], v[90:91]
	ds_read_b128 v[56:59], v215 offset:6656
	v_mul_f64 v[88:89], v[60:61], v[134:135]
	v_fma_f64 v[96:97], v[60:61], v[132:133], -v[92:93]
	s_waitcnt vmcnt(5) lgkmcnt(1)
	v_mul_f64 v[90:91], v[54:55], v[130:131]
	v_add_f64 v[76:77], v[76:77], v[84:85]
	v_add_f64 v[78:79], v[78:79], v[86:87]
	v_mul_f64 v[92:93], v[52:53], v[130:131]
	v_fma_f64 v[100:101], v[62:63], v[132:133], v[88:89]
	s_waitcnt vmcnt(4) lgkmcnt(0)
	v_mul_f64 v[88:89], v[58:59], v[142:143]
	v_fma_f64 v[110:111], v[52:53], v[128:129], -v[90:91]
	v_add_f64 v[76:77], v[76:77], v[102:103]
	v_add_f64 v[78:79], v[78:79], v[108:109]
	v_fma_f64 v[160:161], v[54:55], v[128:129], v[92:93]
	v_mul_f64 v[90:91], v[56:57], v[142:143]
	ds_read_b128 v[60:63], v215 offset:7488
	ds_read_b128 v[52:55], v215 offset:8320
	v_fma_f64 v[162:163], v[56:57], v[140:141], -v[88:89]
	v_add_f64 v[76:77], v[76:77], v[96:97]
	v_add_f64 v[78:79], v[78:79], v[100:101]
	s_waitcnt vmcnt(3) lgkmcnt(1)
	v_mul_f64 v[88:89], v[62:63], v[146:147]
	v_mul_f64 v[92:93], v[60:61], v[146:147]
	v_fma_f64 v[164:165], v[58:59], v[140:141], v[90:91]
	s_waitcnt vmcnt(2) lgkmcnt(0)
	v_mul_f64 v[90:91], v[54:55], v[150:151]
	v_mul_f64 v[94:95], v[52:53], v[150:151]
	ds_read_b128 v[56:59], v215 offset:9152
	v_add_f64 v[76:77], v[76:77], v[110:111]
	v_add_f64 v[78:79], v[78:79], v[160:161]
	v_fma_f64 v[88:89], v[60:61], v[144:145], -v[88:89]
	v_fma_f64 v[92:93], v[62:63], v[144:145], v[92:93]
	ds_read_b128 v[60:63], v215 offset:9984
	v_fma_f64 v[90:91], v[52:53], v[148:149], -v[90:91]
	s_waitcnt vmcnt(1) lgkmcnt(1)
	v_mul_f64 v[52:53], v[58:59], v[154:155]
	v_fma_f64 v[94:95], v[54:55], v[148:149], v[94:95]
	v_add_f64 v[76:77], v[76:77], v[162:163]
	v_add_f64 v[78:79], v[78:79], v[164:165]
	s_waitcnt vmcnt(0) lgkmcnt(0)
	v_mul_f64 v[54:55], v[60:61], v[158:159]
	v_mul_f64 v[98:99], v[56:57], v[154:155]
	s_waitcnt lgkmcnt(0)
	; wave barrier
	v_fma_f64 v[104:105], v[56:57], v[152:153], -v[52:53]
	v_mul_f64 v[52:53], v[62:63], v[158:159]
	v_add_f64 v[76:77], v[76:77], v[88:89]
	v_add_f64 v[78:79], v[78:79], v[92:93]
	v_fma_f64 v[56:57], v[62:63], v[156:157], v[54:55]
	v_fma_f64 v[58:59], v[58:59], v[152:153], v[98:99]
	v_fma_f64 v[60:61], v[60:61], v[156:157], -v[52:53]
	v_add_f64 v[54:55], v[76:77], v[90:91]
	v_add_f64 v[62:63], v[78:79], v[94:95]
	v_add_f64 v[76:77], v[66:67], -v[56:57]
	v_add_f64 v[52:53], v[54:55], v[104:105]
	v_add_f64 v[54:55], v[62:63], v[58:59]
	;; [unrolled: 1-line block ×3, first 2 shown]
	v_mul_f64 v[78:79], v[76:77], s[46:47]
	v_mul_f64 v[166:167], v[76:77], s[18:19]
	;; [unrolled: 1-line block ×3, first 2 shown]
	v_add_f64 v[52:53], v[52:53], v[60:61]
	v_add_f64 v[54:55], v[54:55], v[56:57]
	;; [unrolled: 1-line block ×3, first 2 shown]
	v_mul_f64 v[66:67], v[76:77], s[26:27]
	v_add_f64 v[60:61], v[64:65], -v[60:61]
	v_mul_f64 v[64:65], v[76:77], s[30:31]
	v_mul_f64 v[76:77], v[76:77], s[36:37]
	v_fma_f64 v[98:99], v[62:63], s[16:17], -v[78:79]
	v_fma_f64 v[78:79], v[62:63], s[16:17], v[78:79]
	v_fma_f64 v[174:175], v[62:63], s[2:3], -v[166:167]
	v_fma_f64 v[166:167], v[62:63], s[2:3], v[166:167]
	v_fma_f64 v[170:171], v[62:63], s[6:7], -v[66:67]
	v_fma_f64 v[66:67], v[62:63], s[6:7], v[66:67]
	v_fma_f64 v[172:173], v[62:63], s[0:1], -v[64:65]
	v_fma_f64 v[64:65], v[62:63], s[0:1], v[64:65]
	v_mul_f64 v[176:177], v[60:61], s[46:47]
	v_fma_f64 v[179:180], v[62:63], s[20:21], -v[168:169]
	v_fma_f64 v[168:169], v[62:63], s[20:21], v[168:169]
	v_fma_f64 v[181:182], v[62:63], s[24:25], -v[76:77]
	v_mul_f64 v[183:184], v[60:61], s[26:27]
	v_fma_f64 v[185:186], v[62:63], s[24:25], v[76:77]
	v_mul_f64 v[62:63], v[60:61], s[30:31]
	v_mul_f64 v[187:188], v[60:61], s[18:19]
	;; [unrolled: 1-line block ×4, first 2 shown]
	v_fma_f64 v[76:77], v[56:57], s[16:17], v[176:177]
	v_fma_f64 v[176:177], v[56:57], s[16:17], -v[176:177]
	v_fma_f64 v[191:192], v[56:57], s[6:7], v[183:184]
	v_fma_f64 v[183:184], v[56:57], s[6:7], -v[183:184]
	v_fma_f64 v[193:194], v[56:57], s[0:1], v[62:63]
	v_fma_f64 v[195:196], v[56:57], s[0:1], -v[62:63]
	v_add_f64 v[62:63], v[70:71], -v[58:59]
	v_fma_f64 v[201:202], v[56:57], s[24:25], v[60:61]
	v_fma_f64 v[203:204], v[56:57], s[24:25], -v[60:61]
	v_add_f64 v[60:61], v[68:69], -v[104:105]
	v_fma_f64 v[197:198], v[56:57], s[2:3], v[187:188]
	v_fma_f64 v[187:188], v[56:57], s[2:3], -v[187:188]
	v_fma_f64 v[199:200], v[56:57], s[20:21], v[189:190]
	v_fma_f64 v[189:190], v[56:57], s[20:21], -v[189:190]
	v_add_f64 v[56:57], v[70:71], v[58:59]
	v_add_f64 v[58:59], v[68:69], v[104:105]
	v_mul_f64 v[219:220], v[62:63], s[26:27]
	v_mul_f64 v[221:222], v[60:61], s[26:27]
	v_add_f64 v[70:71], v[74:75], -v[94:95]
	v_add_f64 v[68:69], v[72:73], -v[90:91]
	v_add_f64 v[205:206], v[80:81], v[98:99]
	v_add_f64 v[209:210], v[82:83], v[76:77]
	;; [unrolled: 1-line block ×5, first 2 shown]
	v_fma_f64 v[225:226], v[58:59], s[6:7], -v[219:220]
	v_fma_f64 v[227:228], v[56:57], s[6:7], v[221:222]
	v_add_f64 v[64:65], v[74:75], v[94:95]
	v_add_f64 v[66:67], v[72:73], v[90:91]
	v_mul_f64 v[229:230], v[70:71], s[30:31]
	v_mul_f64 v[231:232], v[68:69], s[30:31]
	v_add_f64 v[76:77], v[86:87], -v[92:93]
	v_add_f64 v[78:79], v[84:85], -v[88:89]
	v_add_f64 v[98:99], v[80:81], v[166:167]
	v_add_f64 v[104:105], v[82:83], v[187:188]
	;; [unrolled: 1-line block ×4, first 2 shown]
	v_fma_f64 v[187:188], v[66:67], s[0:1], -v[229:230]
	v_fma_f64 v[205:206], v[64:65], s[0:1], v[231:232]
	v_add_f64 v[72:73], v[86:87], v[92:93]
	v_add_f64 v[74:75], v[84:85], v[88:89]
	v_mul_f64 v[209:210], v[76:77], s[18:19]
	v_mul_f64 v[225:226], v[78:79], s[18:19]
	v_add_f64 v[92:93], v[80:81], v[168:169]
	v_add_f64 v[94:95], v[82:83], v[189:190]
	;; [unrolled: 1-line block ×4, first 2 shown]
	v_add_f64 v[88:89], v[108:109], -v[164:165]
	v_add_f64 v[90:91], v[102:103], -v[162:163]
	v_fma_f64 v[187:188], v[74:75], s[2:3], -v[209:210]
	v_fma_f64 v[189:190], v[72:73], s[2:3], v[225:226]
	v_add_f64 v[176:177], v[82:83], v[176:177]
	v_add_f64 v[170:171], v[80:81], v[170:171]
	;; [unrolled: 1-line block ×17, first 2 shown]
	v_fma_f64 v[181:182], v[58:59], s[6:7], v[219:220]
	v_fma_f64 v[185:186], v[56:57], s[6:7], -v[221:222]
	v_add_f64 v[187:188], v[108:109], v[164:165]
	v_add_f64 v[189:190], v[102:103], v[162:163]
	v_mul_f64 v[102:103], v[88:89], s[22:23]
	v_mul_f64 v[108:109], v[90:91], s[22:23]
	v_add_f64 v[201:202], v[100:101], -v[160:161]
	v_add_f64 v[203:204], v[96:97], -v[110:111]
	v_add_f64 v[162:163], v[181:182], v[211:212]
	v_add_f64 v[164:165], v[185:186], v[176:177]
	v_fma_f64 v[176:177], v[66:67], s[0:1], v[229:230]
	v_fma_f64 v[181:182], v[64:65], s[0:1], -v[231:232]
	v_fma_f64 v[185:186], v[189:190], s[20:21], -v[102:103]
	v_fma_f64 v[205:206], v[187:188], s[20:21], v[108:109]
	v_add_f64 v[211:212], v[100:101], v[160:161]
	v_add_f64 v[219:220], v[96:97], v[110:111]
	v_mul_f64 v[96:97], v[201:202], s[36:37]
	v_mul_f64 v[100:101], v[203:204], s[36:37]
	v_add_f64 v[110:111], v[176:177], v[162:163]
	v_add_f64 v[160:161], v[181:182], v[164:165]
	v_fma_f64 v[162:163], v[74:75], s[2:3], v[209:210]
	v_fma_f64 v[164:165], v[72:73], s[2:3], -v[225:226]
	v_add_f64 v[168:169], v[185:186], v[168:169]
	v_add_f64 v[166:167], v[205:206], v[166:167]
	v_fma_f64 v[176:177], v[219:220], s[24:25], -v[96:97]
	v_fma_f64 v[181:182], v[211:212], s[24:25], v[100:101]
	v_mul_f64 v[185:186], v[62:63], s[18:19]
	v_mul_f64 v[205:206], v[60:61], s[18:19]
	v_add_f64 v[162:163], v[162:163], v[110:111]
	v_add_f64 v[160:161], v[164:165], v[160:161]
	v_fma_f64 v[102:103], v[189:190], s[20:21], v[102:103]
	v_fma_f64 v[164:165], v[187:188], s[20:21], -v[108:109]
	v_add_f64 v[108:109], v[176:177], v[168:169]
	v_add_f64 v[110:111], v[181:182], v[166:167]
	v_fma_f64 v[166:167], v[58:59], s[2:3], -v[185:186]
	v_fma_f64 v[168:169], v[56:57], s[2:3], v[205:206]
	;; [unrolled: 10-line block ×15, first 2 shown]
	v_mul_f64 v[193:194], v[201:202], s[40:41]
	v_mul_f64 v[195:196], v[203:204], s[40:41]
	v_add_f64 v[96:97], v[104:105], v[96:97]
	v_add_f64 v[98:99], v[181:182], v[98:99]
	v_fma_f64 v[104:105], v[74:75], s[0:1], v[221:222]
	v_fma_f64 v[181:182], v[72:73], s[0:1], -v[223:224]
	v_add_f64 v[183:184], v[185:186], v[183:184]
	v_add_f64 v[176:177], v[191:192], v[176:177]
	v_mul_f64 v[185:186], v[62:63], s[28:29]
	v_mul_f64 v[191:192], v[60:61], s[28:29]
	v_fma_f64 v[209:210], v[219:220], s[6:7], -v[193:194]
	v_fma_f64 v[213:214], v[211:212], s[6:7], v[195:196]
	v_add_f64 v[104:105], v[104:105], v[96:97]
	v_add_f64 v[181:182], v[181:182], v[98:99]
	v_fma_f64 v[197:198], v[189:190], s[24:25], v[197:198]
	v_fma_f64 v[205:206], v[187:188], s[24:25], -v[205:206]
	v_fma_f64 v[221:222], v[58:59], s[0:1], -v[185:186]
	v_fma_f64 v[223:224], v[56:57], s[0:1], v[191:192]
	v_mul_f64 v[225:226], v[70:71], s[26:27]
	v_mul_f64 v[227:228], v[68:69], s[26:27]
	v_fma_f64 v[185:186], v[58:59], s[0:1], v[185:186]
	v_fma_f64 v[191:192], v[56:57], s[0:1], -v[191:192]
	v_add_f64 v[96:97], v[209:210], v[183:184]
	v_add_f64 v[98:99], v[213:214], v[176:177]
	v_add_f64 v[104:105], v[197:198], v[104:105]
	v_add_f64 v[176:177], v[205:206], v[181:182]
	v_add_f64 v[179:180], v[221:222], v[179:180]
	v_add_f64 v[181:182], v[223:224], v[199:200]
	v_fma_f64 v[183:184], v[66:67], s[6:7], -v[225:226]
	v_fma_f64 v[197:198], v[64:65], s[6:7], v[227:228]
	v_mul_f64 v[199:200], v[76:77], s[42:43]
	v_mul_f64 v[205:206], v[78:79], s[42:43]
	v_fma_f64 v[193:194], v[219:220], s[6:7], v[193:194]
	v_fma_f64 v[195:196], v[211:212], s[6:7], -v[195:196]
	v_add_f64 v[185:186], v[185:186], v[92:93]
	v_add_f64 v[191:192], v[191:192], v[94:95]
	v_fma_f64 v[221:222], v[66:67], s[6:7], v[225:226]
	v_fma_f64 v[223:224], v[64:65], s[6:7], -v[227:228]
	v_mul_f64 v[62:63], v[62:63], s[34:35]
	v_mul_f64 v[60:61], v[60:61], s[34:35]
	v_add_f64 v[179:180], v[183:184], v[179:180]
	v_add_f64 v[181:182], v[197:198], v[181:182]
	v_fma_f64 v[183:184], v[74:75], s[24:25], -v[199:200]
	v_fma_f64 v[197:198], v[72:73], s[24:25], v[205:206]
	v_add_f64 v[92:93], v[193:194], v[104:105]
	v_add_f64 v[94:95], v[195:196], v[176:177]
	;; [unrolled: 1-line block ×4, first 2 shown]
	v_fma_f64 v[185:186], v[74:75], s[24:25], v[199:200]
	v_fma_f64 v[191:192], v[72:73], s[24:25], -v[205:206]
	v_fma_f64 v[199:200], v[58:59], s[16:17], -v[62:63]
	v_fma_f64 v[205:206], v[56:57], s[16:17], v[60:61]
	v_mul_f64 v[70:71], v[70:71], s[22:23]
	v_mul_f64 v[68:69], v[68:69], s[22:23]
	v_fma_f64 v[58:59], v[58:59], s[16:17], v[62:63]
	v_fma_f64 v[56:57], v[56:57], s[16:17], -v[60:61]
	v_mul_f64 v[209:210], v[88:89], s[34:35]
	v_mul_f64 v[76:77], v[76:77], s[40:41]
	v_add_f64 v[60:61], v[199:200], v[84:85]
	v_add_f64 v[62:63], v[205:206], v[86:87]
	v_fma_f64 v[84:85], v[66:67], s[20:21], -v[70:71]
	v_fma_f64 v[86:87], v[64:65], s[20:21], v[68:69]
	v_mul_f64 v[78:79], v[78:79], s[40:41]
	v_add_f64 v[58:59], v[58:59], v[80:81]
	v_add_f64 v[56:57], v[56:57], v[82:83]
	v_fma_f64 v[66:67], v[66:67], s[20:21], v[70:71]
	v_fma_f64 v[64:65], v[64:65], s[20:21], -v[68:69]
	v_mul_f64 v[213:214], v[90:91], s[34:35]
	v_add_f64 v[179:180], v[183:184], v[179:180]
	v_fma_f64 v[183:184], v[189:190], s[16:17], -v[209:210]
	v_add_f64 v[60:61], v[84:85], v[60:61]
	v_add_f64 v[62:63], v[86:87], v[62:63]
	v_fma_f64 v[68:69], v[74:75], s[6:7], -v[76:77]
	v_fma_f64 v[70:71], v[72:73], s[6:7], v[78:79]
	v_mul_f64 v[80:81], v[88:89], s[18:19]
	v_mul_f64 v[82:83], v[90:91], s[18:19]
	v_add_f64 v[58:59], v[66:67], v[58:59]
	v_add_f64 v[56:57], v[64:65], v[56:57]
	v_fma_f64 v[64:65], v[74:75], s[6:7], v[76:77]
	v_fma_f64 v[66:67], v[72:73], s[6:7], -v[78:79]
	v_add_f64 v[181:182], v[197:198], v[181:182]
	v_fma_f64 v[197:198], v[187:188], s[16:17], v[213:214]
	v_add_f64 v[179:180], v[183:184], v[179:180]
	v_mul_f64 v[183:184], v[201:202], s[18:19]
	v_mul_f64 v[193:194], v[203:204], s[18:19]
	v_add_f64 v[60:61], v[68:69], v[60:61]
	v_add_f64 v[62:63], v[70:71], v[62:63]
	v_fma_f64 v[68:69], v[189:190], s[2:3], -v[80:81]
	v_fma_f64 v[70:71], v[187:188], s[2:3], v[82:83]
	v_mul_f64 v[72:73], v[201:202], s[28:29]
	v_mul_f64 v[74:75], v[203:204], s[28:29]
	v_add_f64 v[104:105], v[185:186], v[104:105]
	v_add_f64 v[176:177], v[191:192], v[176:177]
	v_fma_f64 v[185:186], v[189:190], s[16:17], v[209:210]
	v_fma_f64 v[191:192], v[187:188], s[16:17], -v[213:214]
	v_add_f64 v[58:59], v[64:65], v[58:59]
	v_add_f64 v[56:57], v[66:67], v[56:57]
	v_fma_f64 v[64:65], v[189:190], s[2:3], v[80:81]
	v_fma_f64 v[66:67], v[187:188], s[2:3], -v[82:83]
	v_add_f64 v[181:182], v[197:198], v[181:182]
	v_fma_f64 v[195:196], v[219:220], s[2:3], -v[183:184]
	v_fma_f64 v[197:198], v[211:212], s[2:3], v[193:194]
	v_add_f64 v[68:69], v[68:69], v[60:61]
	v_add_f64 v[70:71], v[70:71], v[62:63]
	v_fma_f64 v[80:81], v[219:220], s[0:1], -v[72:73]
	v_fma_f64 v[82:83], v[211:212], s[0:1], v[74:75]
	v_add_f64 v[104:105], v[185:186], v[104:105]
	v_add_f64 v[176:177], v[191:192], v[176:177]
	v_fma_f64 v[76:77], v[219:220], s[2:3], v[183:184]
	v_fma_f64 v[78:79], v[211:212], s[2:3], -v[193:194]
	v_add_f64 v[84:85], v[64:65], v[58:59]
	v_add_f64 v[86:87], v[66:67], v[56:57]
	v_fma_f64 v[72:73], v[219:220], s[0:1], v[72:73]
	v_fma_f64 v[74:75], v[211:212], s[0:1], -v[74:75]
	v_add_f64 v[56:57], v[195:196], v[179:180]
	v_add_f64 v[58:59], v[197:198], v[181:182]
	;; [unrolled: 1-line block ×8, first 2 shown]
	ds_write_b128 v217, v[52:55]
	ds_write_b128 v217, v[108:111] offset:208
	ds_write_b128 v217, v[160:163] offset:416
	ds_write_b128 v217, v[168:171] offset:624
	ds_write_b128 v217, v[96:99] offset:832
	ds_write_b128 v217, v[56:59] offset:1040
	ds_write_b128 v217, v[64:67] offset:1248
	ds_write_b128 v217, v[68:71] offset:1456
	ds_write_b128 v217, v[60:63] offset:1664
	ds_write_b128 v217, v[92:95] offset:1872
	ds_write_b128 v217, v[172:175] offset:2080
	ds_write_b128 v217, v[164:167] offset:2288
	ds_write_b128 v217, v[100:103] offset:2496
	s_waitcnt lgkmcnt(0)
	; wave barrier
	s_waitcnt lgkmcnt(0)
	ds_read_b128 v[160:163], v215
	ds_read_b128 v[108:111], v215 offset:832
	ds_read_b128 v[60:63], v215 offset:5408
	;; [unrolled: 1-line block ×11, first 2 shown]
	v_cmp_gt_u16_e64 s[0:1], 13, v216
                                        ; implicit-def: $vgpr164_vgpr165
                                        ; implicit-def: $vgpr168_vgpr169
                                        ; implicit-def: $vgpr172_vgpr173
	s_and_saveexec_b64 s[2:3], s[0:1]
	s_cbranch_execz .LBB0_3
; %bb.2:
	ds_read_b128 v[100:103], v215 offset:2496
	ds_read_b128 v[172:175], v215 offset:5200
	;; [unrolled: 1-line block ×4, first 2 shown]
.LBB0_3:
	s_or_b64 exec, exec, s[2:3]
	v_mad_u64_u32 v[80:81], s[2:3], v216, 48, s[14:15]
	s_movk_i32 s6, 0x9c0
	v_add_u32_e32 v0, 0x9c, v216
	v_add_co_u32_e64 v176, s[2:3], s6, v80
	v_addc_co_u32_e64 v177, s[2:3], 0, v81, s[2:3]
	global_load_dwordx4 v[72:75], v[80:81], off offset:2528
	global_load_dwordx4 v[76:79], v[80:81], off offset:2512
	s_nop 0
	global_load_dwordx4 v[80:83], v[80:81], off offset:2496
	v_add_co_u32_e64 v191, s[2:3], s6, v176
	v_addc_co_u32_e64 v192, s[2:3], 0, v177, s[2:3]
	v_add_u32_e32 v1, -13, v216
	v_cndmask_b32_e64 v0, v1, v0, s[0:1]
	v_mul_hi_i32_i24_e32 v1, 48, v0
	v_mul_i32_i24_e32 v0, 48, v0
	s_waitcnt vmcnt(0) lgkmcnt(7)
	v_mul_f64 v[179:180], v[94:95], v[82:83]
	v_fma_f64 v[179:180], v[92:93], v[80:81], -v[179:180]
	v_mul_f64 v[92:93], v[92:93], v[82:83]
	v_fma_f64 v[181:182], v[94:95], v[80:81], v[92:93]
	v_mul_f64 v[92:93], v[62:63], v[78:79]
	v_fma_f64 v[183:184], v[60:61], v[76:77], -v[92:93]
	v_mul_f64 v[60:61], v[60:61], v[78:79]
	v_add_f64 v[183:184], v[160:161], -v[183:184]
	v_fma_f64 v[185:186], v[62:63], v[76:77], v[60:61]
	s_waitcnt lgkmcnt(3)
	v_mul_f64 v[60:61], v[70:71], v[74:75]
	v_fma_f64 v[160:161], v[160:161], 2.0, -v[183:184]
	v_add_f64 v[185:186], v[162:163], -v[185:186]
	v_fma_f64 v[187:188], v[68:69], v[72:73], -v[60:61]
	v_mul_f64 v[60:61], v[68:69], v[74:75]
	v_fma_f64 v[162:163], v[162:163], 2.0, -v[185:186]
	v_add_f64 v[187:188], v[179:180], -v[187:188]
	v_fma_f64 v[189:190], v[70:71], v[72:73], v[60:61]
	global_load_dwordx4 v[60:63], v[176:177], off offset:2528
	global_load_dwordx4 v[68:71], v[176:177], off offset:2512
	;; [unrolled: 1-line block ×3, first 2 shown]
	v_add_f64 v[189:190], v[181:182], -v[189:190]
	s_waitcnt vmcnt(0)
	v_mul_f64 v[176:177], v[66:67], v[94:95]
	v_fma_f64 v[193:194], v[64:65], v[92:93], -v[176:177]
	v_mul_f64 v[64:65], v[64:65], v[94:95]
	v_fma_f64 v[195:196], v[66:67], v[92:93], v[64:65]
	v_mul_f64 v[64:65], v[54:55], v[70:71]
	v_fma_f64 v[197:198], v[52:53], v[68:69], -v[64:65]
	v_mul_f64 v[52:53], v[52:53], v[70:71]
	v_fma_f64 v[199:200], v[54:55], v[68:69], v[52:53]
	s_waitcnt lgkmcnt(1)
	v_mul_f64 v[52:53], v[58:59], v[62:63]
	v_fma_f64 v[201:202], v[56:57], v[60:61], -v[52:53]
	v_mul_f64 v[52:53], v[56:57], v[62:63]
	v_fma_f64 v[203:204], v[58:59], v[60:61], v[52:53]
	global_load_dwordx4 v[52:55], v[191:192], off offset:2528
	global_load_dwordx4 v[56:59], v[191:192], off offset:2512
	;; [unrolled: 1-line block ×3, first 2 shown]
	s_waitcnt vmcnt(0)
	v_mul_f64 v[176:177], v[98:99], v[66:67]
	v_fma_f64 v[205:206], v[96:97], v[64:65], -v[176:177]
	v_mul_f64 v[96:97], v[96:97], v[66:67]
	v_fma_f64 v[209:210], v[98:99], v[64:65], v[96:97]
	v_mul_f64 v[96:97], v[90:91], v[58:59]
	v_fma_f64 v[211:212], v[88:89], v[56:57], -v[96:97]
	v_mul_f64 v[88:89], v[88:89], v[58:59]
	v_add_co_u32_e64 v96, s[2:3], s14, v0
	v_mov_b32_e32 v0, s15
	v_addc_co_u32_e64 v97, s[2:3], v0, v1, s[2:3]
	v_fma_f64 v[213:214], v[90:91], v[56:57], v[88:89]
	s_waitcnt lgkmcnt(0)
	v_mul_f64 v[88:89], v[86:87], v[54:55]
	v_fma_f64 v[219:220], v[84:85], v[52:53], -v[88:89]
	v_mul_f64 v[84:85], v[84:85], v[54:55]
	v_fma_f64 v[221:222], v[86:87], v[52:53], v[84:85]
	global_load_dwordx4 v[84:87], v[96:97], off offset:2528
	global_load_dwordx4 v[88:91], v[96:97], off offset:2512
	s_nop 0
	global_load_dwordx4 v[96:99], v[96:97], off offset:2496
	s_waitcnt vmcnt(0)
	v_mul_f64 v[176:177], v[174:175], v[98:99]
	v_fma_f64 v[176:177], v[172:173], v[96:97], -v[176:177]
	v_mul_f64 v[172:173], v[172:173], v[98:99]
	v_fma_f64 v[172:173], v[174:175], v[96:97], v[172:173]
	v_mul_f64 v[174:175], v[170:171], v[90:91]
	v_fma_f64 v[174:175], v[168:169], v[88:89], -v[174:175]
	v_mul_f64 v[168:169], v[168:169], v[90:91]
	v_fma_f64 v[227:228], v[170:171], v[88:89], v[168:169]
	;; [unrolled: 4-line block ×3, first 2 shown]
	v_fma_f64 v[164:165], v[179:180], 2.0, -v[187:188]
	v_fma_f64 v[166:167], v[181:182], 2.0, -v[189:190]
	v_add_f64 v[179:180], v[183:184], -v[189:190]
	v_add_f64 v[181:182], v[185:186], v[187:188]
	v_add_f64 v[164:165], v[160:161], -v[164:165]
	v_add_f64 v[166:167], v[162:163], -v[166:167]
	v_fma_f64 v[183:184], v[183:184], 2.0, -v[179:180]
	v_fma_f64 v[185:186], v[185:186], 2.0, -v[181:182]
	;; [unrolled: 1-line block ×4, first 2 shown]
	v_add_f64 v[160:161], v[108:109], -v[197:198]
	v_add_f64 v[162:163], v[110:111], -v[199:200]
	;; [unrolled: 1-line block ×4, first 2 shown]
	v_fma_f64 v[108:109], v[108:109], 2.0, -v[160:161]
	v_fma_f64 v[110:111], v[110:111], 2.0, -v[162:163]
	;; [unrolled: 1-line block ×4, first 2 shown]
	v_add_f64 v[195:196], v[160:161], -v[199:200]
	v_add_f64 v[197:198], v[162:163], v[197:198]
	v_add_f64 v[187:188], v[108:109], -v[187:188]
	v_add_f64 v[189:190], v[110:111], -v[189:190]
	v_fma_f64 v[199:200], v[160:161], 2.0, -v[195:196]
	v_fma_f64 v[201:202], v[162:163], 2.0, -v[197:198]
	v_add_f64 v[160:161], v[205:206], -v[219:220]
	v_add_f64 v[162:163], v[209:210], -v[221:222]
	v_fma_f64 v[191:192], v[108:109], 2.0, -v[187:188]
	v_fma_f64 v[193:194], v[110:111], 2.0, -v[189:190]
	;; [unrolled: 4-line block ×3, first 2 shown]
	v_fma_f64 v[104:105], v[104:105], 2.0, -v[108:109]
	v_fma_f64 v[106:107], v[106:107], 2.0, -v[110:111]
	v_add_f64 v[219:220], v[108:109], -v[162:163]
	v_add_f64 v[221:222], v[110:111], v[160:161]
	v_add_f64 v[203:204], v[104:105], -v[203:204]
	v_add_f64 v[205:206], v[106:107], -v[205:206]
	v_fma_f64 v[223:224], v[108:109], 2.0, -v[219:220]
	v_fma_f64 v[225:226], v[110:111], 2.0, -v[221:222]
	v_add_f64 v[108:109], v[100:101], -v[174:175]
	v_add_f64 v[110:111], v[102:103], -v[227:228]
	v_fma_f64 v[209:210], v[104:105], 2.0, -v[203:204]
	v_fma_f64 v[211:212], v[106:107], 2.0, -v[205:206]
	;; [unrolled: 4-line block ×3, first 2 shown]
	ds_write_b128 v215, v[168:171]
	ds_write_b128 v215, v[183:186] offset:2704
	ds_write_b128 v215, v[164:167] offset:5408
	;; [unrolled: 1-line block ×11, first 2 shown]
	v_fma_f64 v[100:101], v[176:177], 2.0, -v[106:107]
	v_fma_f64 v[102:103], v[172:173], 2.0, -v[104:105]
	v_add_f64 v[104:105], v[108:109], -v[104:105]
	v_add_f64 v[106:107], v[110:111], v[106:107]
	v_add_f64 v[100:101], v[160:161], -v[100:101]
	v_add_f64 v[102:103], v[162:163], -v[102:103]
	v_fma_f64 v[108:109], v[108:109], 2.0, -v[104:105]
	v_fma_f64 v[110:111], v[110:111], 2.0, -v[106:107]
	s_and_saveexec_b64 s[2:3], s[0:1]
	s_cbranch_execz .LBB0_5
; %bb.4:
	v_fma_f64 v[162:163], v[162:163], 2.0, -v[102:103]
	v_fma_f64 v[160:161], v[160:161], 2.0, -v[100:101]
	ds_write_b128 v215, v[108:111] offset:5200
	ds_write_b128 v215, v[100:103] offset:7904
	;; [unrolled: 1-line block ×4, first 2 shown]
.LBB0_5:
	s_or_b64 exec, exec, s[2:3]
	v_mov_b32_e32 v0, s13
	v_addc_co_u32_e32 v160, vcc, 0, v0, vcc
	s_movk_i32 s2, 0x2a40
	v_add_co_u32_e32 v173, vcc, s2, v178
	v_addc_co_u32_e32 v174, vcc, 0, v160, vcc
	s_movk_i32 s2, 0x2000
	v_add_co_u32_e32 v165, vcc, s2, v178
	v_addc_co_u32_e32 v166, vcc, 0, v160, vcc
	s_waitcnt lgkmcnt(0)
	; wave barrier
	s_waitcnt lgkmcnt(0)
	global_load_dwordx4 v[165:168], v[165:166], off offset:2624
	ds_read_b128 v[161:164], v215
	s_movk_i32 s2, 0x3000
	s_mov_b32 s18, 0x4267c47c
	s_mov_b32 s6, 0x42a4c3d2
	;; [unrolled: 1-line block ×32, first 2 shown]
	s_waitcnt vmcnt(0) lgkmcnt(0)
	v_mul_f64 v[169:170], v[163:164], v[167:168]
	v_fma_f64 v[169:170], v[161:162], v[165:166], -v[169:170]
	v_mul_f64 v[161:162], v[161:162], v[167:168]
	v_fma_f64 v[171:172], v[163:164], v[165:166], v[161:162]
	global_load_dwordx4 v[165:168], v[173:174], off offset:832
	ds_read_b128 v[161:164], v215 offset:832
	ds_write_b128 v215, v[169:172]
	s_waitcnt vmcnt(0) lgkmcnt(1)
	v_mul_f64 v[169:170], v[163:164], v[167:168]
	v_fma_f64 v[169:170], v[161:162], v[165:166], -v[169:170]
	v_mul_f64 v[161:162], v[161:162], v[167:168]
	v_fma_f64 v[171:172], v[163:164], v[165:166], v[161:162]
	global_load_dwordx4 v[165:168], v[173:174], off offset:1664
	ds_read_b128 v[161:164], v215 offset:1664
	ds_write_b128 v215, v[169:172] offset:832
	s_waitcnt vmcnt(0) lgkmcnt(1)
	v_mul_f64 v[169:170], v[163:164], v[167:168]
	v_fma_f64 v[169:170], v[161:162], v[165:166], -v[169:170]
	v_mul_f64 v[161:162], v[161:162], v[167:168]
	v_fma_f64 v[171:172], v[163:164], v[165:166], v[161:162]
	global_load_dwordx4 v[165:168], v[173:174], off offset:2496
	ds_read_b128 v[161:164], v215 offset:2496
	ds_write_b128 v215, v[169:172] offset:1664
	s_waitcnt vmcnt(0) lgkmcnt(1)
	v_mul_f64 v[169:170], v[163:164], v[167:168]
	v_fma_f64 v[169:170], v[161:162], v[165:166], -v[169:170]
	v_mul_f64 v[161:162], v[161:162], v[167:168]
	v_fma_f64 v[171:172], v[163:164], v[165:166], v[161:162]
	global_load_dwordx4 v[165:168], v[173:174], off offset:3328
	ds_read_b128 v[161:164], v215 offset:3328
	v_add_co_u32_e32 v173, vcc, s2, v178
	v_addc_co_u32_e32 v174, vcc, 0, v160, vcc
	s_movk_i32 s2, 0x4000
	ds_write_b128 v215, v[169:172] offset:2496
	s_waitcnt vmcnt(0) lgkmcnt(1)
	v_mul_f64 v[169:170], v[163:164], v[167:168]
	v_fma_f64 v[169:170], v[161:162], v[165:166], -v[169:170]
	v_mul_f64 v[161:162], v[161:162], v[167:168]
	v_fma_f64 v[171:172], v[163:164], v[165:166], v[161:162]
	global_load_dwordx4 v[165:168], v[173:174], off offset:2688
	ds_read_b128 v[161:164], v215 offset:4160
	ds_write_b128 v215, v[169:172] offset:3328
	s_waitcnt vmcnt(0) lgkmcnt(1)
	v_mul_f64 v[169:170], v[163:164], v[167:168]
	v_fma_f64 v[169:170], v[161:162], v[165:166], -v[169:170]
	v_mul_f64 v[161:162], v[161:162], v[167:168]
	v_fma_f64 v[171:172], v[163:164], v[165:166], v[161:162]
	global_load_dwordx4 v[165:168], v[173:174], off offset:3520
	ds_read_b128 v[161:164], v215 offset:4992
	v_add_co_u32_e32 v173, vcc, s2, v178
	v_addc_co_u32_e32 v174, vcc, 0, v160, vcc
	s_movk_i32 s2, 0x5000
	ds_write_b128 v215, v[169:172] offset:4160
	s_waitcnt vmcnt(0) lgkmcnt(1)
	v_mul_f64 v[169:170], v[163:164], v[167:168]
	v_fma_f64 v[169:170], v[161:162], v[165:166], -v[169:170]
	v_mul_f64 v[161:162], v[161:162], v[167:168]
	v_fma_f64 v[171:172], v[163:164], v[165:166], v[161:162]
	global_load_dwordx4 v[165:168], v[173:174], off offset:256
	ds_read_b128 v[161:164], v215 offset:5824
	ds_write_b128 v215, v[169:172] offset:4992
	s_waitcnt vmcnt(0) lgkmcnt(1)
	v_mul_f64 v[169:170], v[163:164], v[167:168]
	v_fma_f64 v[169:170], v[161:162], v[165:166], -v[169:170]
	v_mul_f64 v[161:162], v[161:162], v[167:168]
	v_fma_f64 v[171:172], v[163:164], v[165:166], v[161:162]
	global_load_dwordx4 v[165:168], v[173:174], off offset:1088
	ds_read_b128 v[161:164], v215 offset:6656
	;; [unrolled: 8-line block ×5, first 2 shown]
	ds_write_b128 v215, v[169:172] offset:8320
	s_waitcnt vmcnt(0) lgkmcnt(1)
	v_mul_f64 v[169:170], v[163:164], v[167:168]
	v_fma_f64 v[169:170], v[161:162], v[165:166], -v[169:170]
	v_mul_f64 v[161:162], v[161:162], v[167:168]
	v_fma_f64 v[171:172], v[163:164], v[165:166], v[161:162]
	v_add_co_u32_e32 v165, vcc, s2, v178
	v_addc_co_u32_e32 v166, vcc, 0, v160, vcc
	global_load_dwordx4 v[165:168], v[165:166], off offset:320
	ds_read_b128 v[161:164], v215 offset:9984
	s_mov_b32 s2, 0x66966769
	ds_write_b128 v215, v[169:172] offset:9152
	s_mov_b32 s3, 0xbfefc445
	s_mov_b32 s22, s2
	s_waitcnt vmcnt(0) lgkmcnt(1)
	v_mul_f64 v[169:170], v[163:164], v[167:168]
	v_fma_f64 v[169:170], v[161:162], v[165:166], -v[169:170]
	v_mul_f64 v[160:161], v[161:162], v[167:168]
	v_fma_f64 v[171:172], v[163:164], v[165:166], v[160:161]
	ds_write_b128 v215, v[169:172] offset:9984
	s_waitcnt lgkmcnt(0)
	; wave barrier
	s_waitcnt lgkmcnt(0)
	ds_read_b128 v[204:207], v215
	ds_read_b128 v[209:212], v215 offset:832
	ds_read_b128 v[196:199], v215 offset:1664
	;; [unrolled: 1-line block ×12, first 2 shown]
	s_waitcnt lgkmcnt(11)
	v_add_f64 v[162:163], v[206:207], v[211:212]
	v_add_f64 v[160:161], v[204:205], v[209:210]
	s_waitcnt lgkmcnt(0)
	; wave barrier
	s_waitcnt lgkmcnt(0)
	v_add_f64 v[225:226], v[211:212], v[221:222]
	v_add_f64 v[223:224], v[209:210], v[219:220]
	v_add_f64 v[162:163], v[162:163], v[198:199]
	v_add_f64 v[160:161], v[160:161], v[196:197]
	v_mul_f64 v[213:214], v[225:226], s[20:21]
	v_mul_f64 v[233:234], v[225:226], s[12:13]
	;; [unrolled: 1-line block ×4, first 2 shown]
	v_add_f64 v[162:163], v[162:163], v[190:191]
	v_add_f64 v[160:161], v[160:161], v[188:189]
	v_mul_f64 v[2:3], v[225:226], s[36:37]
	v_mul_f64 v[225:226], v[225:226], s[42:43]
	v_add_f64 v[162:163], v[162:163], v[182:183]
	v_add_f64 v[160:161], v[160:161], v[180:181]
	;; [unrolled: 1-line block ×17, first 2 shown]
	v_add_f64 v[221:222], v[211:212], -v[221:222]
	v_add_f64 v[160:161], v[160:161], v[219:220]
	v_add_f64 v[219:220], v[209:210], -v[219:220]
	v_mul_f64 v[211:212], v[221:222], s[18:19]
	v_mul_f64 v[229:230], v[221:222], s[6:7]
	;; [unrolled: 1-line block ×6, first 2 shown]
	v_fma_f64 v[235:236], v[219:220], s[14:15], v[233:234]
	v_fma_f64 v[233:234], v[219:220], s[6:7], v[233:234]
	;; [unrolled: 1-line block ×3, first 2 shown]
	v_fma_f64 v[211:212], v[223:224], s[20:21], -v[211:212]
	v_fma_f64 v[231:232], v[223:224], s[12:13], v[229:230]
	v_fma_f64 v[229:230], v[223:224], s[12:13], -v[229:230]
	v_fma_f64 v[239:240], v[223:224], s[16:17], v[237:238]
	;; [unrolled: 2-line block ×5, first 2 shown]
	v_fma_f64 v[10:11], v[223:224], s[42:43], -v[221:222]
	v_add_f64 v[227:228], v[204:205], v[209:210]
	v_fma_f64 v[209:210], v[219:220], s[24:25], v[213:214]
	v_add_f64 v[211:212], v[204:205], v[211:212]
	v_fma_f64 v[213:214], v[219:220], s[18:19], v[213:214]
	v_add_f64 v[231:232], v[204:205], v[231:232]
	v_add_f64 v[229:230], v[204:205], v[229:230]
	;; [unrolled: 1-line block ×3, first 2 shown]
	v_fma_f64 v[243:244], v[219:220], s[22:23], v[241:242]
	v_add_f64 v[237:238], v[204:205], v[237:238]
	v_fma_f64 v[241:242], v[219:220], s[2:3], v[241:242]
	v_add_f64 v[247:248], v[204:205], v[247:248]
	;; [unrolled: 2-line block ×8, first 2 shown]
	v_add_f64 v[198:199], v[198:199], -v[202:203]
	v_add_f64 v[209:210], v[206:207], v[209:210]
	v_add_f64 v[213:214], v[206:207], v[213:214]
	;; [unrolled: 1-line block ×13, first 2 shown]
	v_add_f64 v[196:197], v[196:197], -v[200:201]
	v_mul_f64 v[200:201], v[198:199], s[6:7]
	v_mul_f64 v[221:222], v[219:220], s[12:13]
	v_fma_f64 v[202:203], v[206:207], s[12:13], v[200:201]
	v_fma_f64 v[200:201], v[206:207], s[12:13], -v[200:201]
	v_fma_f64 v[223:224], v[196:197], s[14:15], v[221:222]
	v_add_f64 v[202:203], v[202:203], v[227:228]
	v_add_f64 v[200:201], v[200:201], v[211:212]
	v_fma_f64 v[211:212], v[196:197], s[6:7], v[221:222]
	v_add_f64 v[209:210], v[223:224], v[209:210]
	v_mul_f64 v[223:224], v[219:220], s[28:29]
	v_mul_f64 v[227:228], v[198:199], s[40:41]
	v_add_f64 v[211:212], v[211:212], v[213:214]
	v_mul_f64 v[213:214], v[198:199], s[26:27]
	v_fma_f64 v[225:226], v[196:197], s[30:31], v[223:224]
	v_fma_f64 v[223:224], v[196:197], s[26:27], v[223:224]
	;; [unrolled: 1-line block ×3, first 2 shown]
	v_fma_f64 v[213:214], v[206:207], s[28:29], -v[213:214]
	v_add_f64 v[225:226], v[225:226], v[235:236]
	v_add_f64 v[223:224], v[223:224], v[233:234]
	v_mul_f64 v[235:236], v[198:199], s[38:39]
	v_add_f64 v[221:222], v[221:222], v[231:232]
	v_mul_f64 v[231:232], v[219:220], s[42:43]
	v_add_f64 v[213:214], v[213:214], v[229:230]
	v_fma_f64 v[229:230], v[206:207], s[42:43], v[227:228]
	v_fma_f64 v[227:228], v[206:207], s[42:43], -v[227:228]
	v_fma_f64 v[233:234], v[196:197], s[44:45], v[231:232]
	v_fma_f64 v[231:232], v[196:197], s[40:41], v[231:232]
	v_add_f64 v[229:230], v[229:230], v[239:240]
	v_add_f64 v[227:228], v[227:228], v[237:238]
	v_fma_f64 v[237:238], v[206:207], s[36:37], v[235:236]
	v_fma_f64 v[235:236], v[206:207], s[36:37], -v[235:236]
	v_mul_f64 v[239:240], v[219:220], s[36:37]
	v_add_f64 v[233:234], v[233:234], v[243:244]
	v_mul_f64 v[243:244], v[198:199], s[22:23]
	v_add_f64 v[231:232], v[231:232], v[241:242]
	;; [unrolled: 2-line block ×3, first 2 shown]
	v_add_f64 v[235:236], v[235:236], v[245:246]
	v_fma_f64 v[241:242], v[196:197], s[34:35], v[239:240]
	v_fma_f64 v[239:240], v[196:197], s[38:39], v[239:240]
	;; [unrolled: 1-line block ×3, first 2 shown]
	v_fma_f64 v[243:244], v[206:207], s[16:17], -v[243:244]
	v_add_f64 v[241:242], v[241:242], v[251:252]
	v_add_f64 v[239:240], v[239:240], v[249:250]
	;; [unrolled: 1-line block ×3, first 2 shown]
	v_mul_f64 v[245:246], v[219:220], s[16:17]
	v_mul_f64 v[219:220], v[219:220], s[20:21]
	v_add_f64 v[6:7], v[243:244], v[6:7]
	v_fma_f64 v[247:248], v[196:197], s[2:3], v[245:246]
	v_fma_f64 v[243:244], v[196:197], s[22:23], v[245:246]
	v_fma_f64 v[245:246], v[196:197], s[18:19], v[219:220]
	v_fma_f64 v[196:197], v[196:197], s[24:25], v[219:220]
	v_add_f64 v[4:5], v[247:248], v[4:5]
	v_add_f64 v[2:3], v[243:244], v[2:3]
	v_fma_f64 v[243:244], v[206:207], s[20:21], v[198:199]
	v_fma_f64 v[198:199], v[206:207], s[20:21], -v[198:199]
	v_add_f64 v[196:197], v[196:197], v[204:205]
	v_add_f64 v[204:205], v[190:191], v[194:195]
	v_add_f64 v[190:191], v[190:191], -v[194:195]
	v_add_f64 v[8:9], v[245:246], v[8:9]
	v_add_f64 v[243:244], v[243:244], v[253:254]
	;; [unrolled: 1-line block ×4, first 2 shown]
	v_add_f64 v[188:189], v[188:189], -v[192:193]
	v_mul_f64 v[192:193], v[190:191], s[2:3]
	v_fma_f64 v[194:195], v[198:199], s[16:17], v[192:193]
	v_fma_f64 v[192:193], v[198:199], s[16:17], -v[192:193]
	v_add_f64 v[194:195], v[194:195], v[202:203]
	v_mul_f64 v[202:203], v[204:205], s[16:17]
	v_add_f64 v[192:193], v[192:193], v[200:201]
	v_fma_f64 v[206:207], v[188:189], s[22:23], v[202:203]
	v_fma_f64 v[200:201], v[188:189], s[2:3], v[202:203]
	v_mul_f64 v[202:203], v[190:191], s[40:41]
	v_add_f64 v[206:207], v[206:207], v[209:210]
	v_add_f64 v[200:201], v[200:201], v[211:212]
	v_fma_f64 v[209:210], v[198:199], s[42:43], v[202:203]
	v_fma_f64 v[202:203], v[198:199], s[42:43], -v[202:203]
	v_mul_f64 v[211:212], v[204:205], s[42:43]
	v_add_f64 v[209:210], v[209:210], v[221:222]
	v_add_f64 v[202:203], v[202:203], v[213:214]
	v_mul_f64 v[213:214], v[190:191], s[30:31]
	v_fma_f64 v[219:220], v[188:189], s[44:45], v[211:212]
	v_fma_f64 v[211:212], v[188:189], s[40:41], v[211:212]
	;; [unrolled: 1-line block ×3, first 2 shown]
	v_fma_f64 v[213:214], v[198:199], s[28:29], -v[213:214]
	v_add_f64 v[211:212], v[211:212], v[223:224]
	v_mul_f64 v[223:224], v[204:205], s[28:29]
	v_add_f64 v[219:220], v[219:220], v[225:226]
	v_add_f64 v[221:222], v[221:222], v[229:230]
	;; [unrolled: 1-line block ×3, first 2 shown]
	v_mul_f64 v[227:228], v[190:191], s[24:25]
	v_fma_f64 v[225:226], v[188:189], s[26:27], v[223:224]
	v_fma_f64 v[223:224], v[188:189], s[30:31], v[223:224]
	;; [unrolled: 1-line block ×3, first 2 shown]
	v_fma_f64 v[227:228], v[198:199], s[20:21], -v[227:228]
	v_add_f64 v[223:224], v[223:224], v[231:232]
	v_mul_f64 v[231:232], v[204:205], s[20:21]
	v_add_f64 v[225:226], v[225:226], v[233:234]
	v_add_f64 v[229:230], v[229:230], v[237:238]
	;; [unrolled: 1-line block ×3, first 2 shown]
	v_mul_f64 v[235:236], v[190:191], s[6:7]
	v_fma_f64 v[233:234], v[188:189], s[18:19], v[231:232]
	v_fma_f64 v[231:232], v[188:189], s[24:25], v[231:232]
	v_mul_f64 v[190:191], v[190:191], s[34:35]
	v_fma_f64 v[237:238], v[198:199], s[12:13], v[235:236]
	v_fma_f64 v[235:236], v[198:199], s[12:13], -v[235:236]
	v_add_f64 v[231:232], v[231:232], v[239:240]
	v_add_f64 v[233:234], v[233:234], v[241:242]
	;; [unrolled: 1-line block ×3, first 2 shown]
	v_mul_f64 v[237:238], v[204:205], s[12:13]
	v_mul_f64 v[204:205], v[204:205], s[36:37]
	v_add_f64 v[6:7], v[235:236], v[6:7]
	v_fma_f64 v[239:240], v[188:189], s[14:15], v[237:238]
	v_fma_f64 v[235:236], v[188:189], s[6:7], v[237:238]
	;; [unrolled: 1-line block ×4, first 2 shown]
	v_add_f64 v[4:5], v[239:240], v[4:5]
	v_add_f64 v[2:3], v[235:236], v[2:3]
	v_fma_f64 v[235:236], v[198:199], s[36:37], v[190:191]
	v_fma_f64 v[190:191], v[198:199], s[36:37], -v[190:191]
	v_add_f64 v[188:189], v[188:189], v[196:197]
	v_add_f64 v[196:197], v[182:183], v[186:187]
	v_add_f64 v[182:183], v[182:183], -v[186:187]
	v_add_f64 v[8:9], v[237:238], v[8:9]
	v_add_f64 v[235:236], v[235:236], v[243:244]
	;; [unrolled: 1-line block ×4, first 2 shown]
	v_add_f64 v[180:181], v[180:181], -v[184:185]
	v_mul_f64 v[184:185], v[182:183], s[26:27]
	v_mul_f64 v[204:205], v[196:197], s[36:37]
	v_fma_f64 v[186:187], v[190:191], s[28:29], v[184:185]
	v_fma_f64 v[184:185], v[190:191], s[28:29], -v[184:185]
	v_add_f64 v[186:187], v[186:187], v[194:195]
	v_mul_f64 v[194:195], v[196:197], s[28:29]
	v_add_f64 v[184:185], v[184:185], v[192:193]
	v_fma_f64 v[198:199], v[180:181], s[30:31], v[194:195]
	v_fma_f64 v[192:193], v[180:181], s[26:27], v[194:195]
	v_mul_f64 v[194:195], v[182:183], s[38:39]
	v_add_f64 v[198:199], v[198:199], v[206:207]
	v_add_f64 v[192:193], v[192:193], v[200:201]
	v_fma_f64 v[200:201], v[190:191], s[36:37], v[194:195]
	v_fma_f64 v[194:195], v[190:191], s[36:37], -v[194:195]
	v_fma_f64 v[206:207], v[180:181], s[34:35], v[204:205]
	v_add_f64 v[200:201], v[200:201], v[209:210]
	v_add_f64 v[194:195], v[194:195], v[202:203]
	v_fma_f64 v[202:203], v[180:181], s[38:39], v[204:205]
	v_mul_f64 v[204:205], v[182:183], s[24:25]
	v_add_f64 v[206:207], v[206:207], v[219:220]
	v_add_f64 v[202:203], v[202:203], v[211:212]
	v_fma_f64 v[209:210], v[190:191], s[20:21], v[204:205]
	v_fma_f64 v[204:205], v[190:191], s[20:21], -v[204:205]
	v_mul_f64 v[211:212], v[196:197], s[20:21]
	v_add_f64 v[209:210], v[209:210], v[221:222]
	v_add_f64 v[204:205], v[204:205], v[213:214]
	v_mul_f64 v[213:214], v[182:183], s[2:3]
	v_fma_f64 v[219:220], v[180:181], s[18:19], v[211:212]
	v_fma_f64 v[211:212], v[180:181], s[24:25], v[211:212]
	;; [unrolled: 1-line block ×3, first 2 shown]
	v_fma_f64 v[213:214], v[190:191], s[16:17], -v[213:214]
	v_add_f64 v[211:212], v[211:212], v[223:224]
	v_mul_f64 v[223:224], v[196:197], s[16:17]
	v_add_f64 v[219:220], v[219:220], v[225:226]
	v_add_f64 v[221:222], v[221:222], v[229:230]
	;; [unrolled: 1-line block ×3, first 2 shown]
	v_mul_f64 v[227:228], v[182:183], s[44:45]
	v_fma_f64 v[225:226], v[180:181], s[22:23], v[223:224]
	v_fma_f64 v[223:224], v[180:181], s[2:3], v[223:224]
	v_mul_f64 v[182:183], v[182:183], s[14:15]
	v_fma_f64 v[229:230], v[190:191], s[42:43], v[227:228]
	v_fma_f64 v[227:228], v[190:191], s[42:43], -v[227:228]
	v_add_f64 v[223:224], v[223:224], v[231:232]
	v_add_f64 v[225:226], v[225:226], v[233:234]
	;; [unrolled: 1-line block ×3, first 2 shown]
	v_mul_f64 v[229:230], v[196:197], s[42:43]
	v_mul_f64 v[196:197], v[196:197], s[12:13]
	v_add_f64 v[6:7], v[227:228], v[6:7]
	v_fma_f64 v[231:232], v[180:181], s[40:41], v[229:230]
	v_fma_f64 v[227:228], v[180:181], s[44:45], v[229:230]
	;; [unrolled: 1-line block ×4, first 2 shown]
	v_add_f64 v[4:5], v[231:232], v[4:5]
	v_add_f64 v[2:3], v[227:228], v[2:3]
	v_fma_f64 v[227:228], v[190:191], s[12:13], v[182:183]
	v_fma_f64 v[182:183], v[190:191], s[12:13], -v[182:183]
	v_add_f64 v[180:181], v[180:181], v[188:189]
	v_add_f64 v[188:189], v[174:175], v[178:179]
	v_add_f64 v[174:175], v[174:175], -v[178:179]
	v_add_f64 v[8:9], v[229:230], v[8:9]
	v_add_f64 v[229:230], v[166:167], -v[170:171]
	v_add_f64 v[227:228], v[227:228], v[235:236]
	v_add_f64 v[10:11], v[182:183], v[10:11]
	v_add_f64 v[182:183], v[172:173], v[176:177]
	v_add_f64 v[172:173], v[172:173], -v[176:177]
	v_mul_f64 v[176:177], v[174:175], s[34:35]
	v_mul_f64 v[196:197], v[188:189], s[16:17]
	v_fma_f64 v[178:179], v[182:183], s[36:37], v[176:177]
	v_fma_f64 v[176:177], v[182:183], s[36:37], -v[176:177]
	v_add_f64 v[178:179], v[178:179], v[186:187]
	v_mul_f64 v[186:187], v[188:189], s[36:37]
	v_add_f64 v[176:177], v[176:177], v[184:185]
	v_fma_f64 v[190:191], v[172:173], s[38:39], v[186:187]
	v_fma_f64 v[184:185], v[172:173], s[34:35], v[186:187]
	v_mul_f64 v[186:187], v[174:175], s[22:23]
	v_add_f64 v[190:191], v[190:191], v[198:199]
	v_add_f64 v[184:185], v[184:185], v[192:193]
	v_fma_f64 v[192:193], v[182:183], s[16:17], v[186:187]
	v_fma_f64 v[186:187], v[182:183], s[16:17], -v[186:187]
	v_fma_f64 v[198:199], v[172:173], s[2:3], v[196:197]
	v_add_f64 v[192:193], v[192:193], v[200:201]
	v_add_f64 v[186:187], v[186:187], v[194:195]
	v_fma_f64 v[194:195], v[172:173], s[22:23], v[196:197]
	v_mul_f64 v[196:197], v[174:175], s[6:7]
	v_add_f64 v[198:199], v[198:199], v[206:207]
	v_add_f64 v[194:195], v[194:195], v[202:203]
	v_fma_f64 v[200:201], v[182:183], s[12:13], v[196:197]
	v_fma_f64 v[196:197], v[182:183], s[12:13], -v[196:197]
	v_mul_f64 v[202:203], v[188:189], s[12:13]
	v_add_f64 v[200:201], v[200:201], v[209:210]
	v_add_f64 v[196:197], v[196:197], v[204:205]
	v_mul_f64 v[204:205], v[174:175], s[44:45]
	v_fma_f64 v[206:207], v[172:173], s[14:15], v[202:203]
	v_fma_f64 v[202:203], v[172:173], s[6:7], v[202:203]
	;; [unrolled: 1-line block ×3, first 2 shown]
	v_fma_f64 v[204:205], v[182:183], s[42:43], -v[204:205]
	v_add_f64 v[202:203], v[202:203], v[211:212]
	v_mul_f64 v[211:212], v[188:189], s[42:43]
	v_add_f64 v[206:207], v[206:207], v[219:220]
	v_add_f64 v[209:210], v[209:210], v[221:222]
	;; [unrolled: 1-line block ×3, first 2 shown]
	v_mul_f64 v[213:214], v[174:175], s[24:25]
	v_fma_f64 v[219:220], v[172:173], s[40:41], v[211:212]
	v_mul_f64 v[174:175], v[174:175], s[26:27]
	v_fma_f64 v[211:212], v[172:173], s[44:45], v[211:212]
	v_fma_f64 v[221:222], v[182:183], s[20:21], v[213:214]
	v_fma_f64 v[213:214], v[182:183], s[20:21], -v[213:214]
	v_add_f64 v[219:220], v[219:220], v[225:226]
	v_add_f64 v[225:226], v[166:167], v[170:171]
	;; [unrolled: 1-line block ×4, first 2 shown]
	v_mul_f64 v[221:222], v[188:189], s[20:21]
	v_add_f64 v[6:7], v[213:214], v[6:7]
	v_mul_f64 v[170:171], v[225:226], s[42:43]
	v_mul_f64 v[188:189], v[188:189], s[28:29]
	v_fma_f64 v[213:214], v[172:173], s[24:25], v[221:222]
	v_fma_f64 v[223:224], v[172:173], s[18:19], v[221:222]
	;; [unrolled: 1-line block ×4, first 2 shown]
	v_add_f64 v[2:3], v[213:214], v[2:3]
	v_fma_f64 v[213:214], v[182:183], s[28:29], v[174:175]
	v_add_f64 v[4:5], v[223:224], v[4:5]
	v_add_f64 v[223:224], v[164:165], v[168:169]
	;; [unrolled: 1-line block ×4, first 2 shown]
	v_fma_f64 v[174:175], v[182:183], s[28:29], -v[174:175]
	v_add_f64 v[213:214], v[213:214], v[227:228]
	v_add_f64 v[227:228], v[164:165], -v[168:169]
	v_mul_f64 v[168:169], v[229:230], s[40:41]
	v_add_f64 v[10:11], v[174:175], v[10:11]
	v_fma_f64 v[166:167], v[227:228], s[44:45], v[170:171]
	v_fma_f64 v[170:171], v[227:228], s[40:41], v[170:171]
	;; [unrolled: 1-line block ×3, first 2 shown]
	v_fma_f64 v[168:169], v[223:224], s[42:43], -v[168:169]
	v_add_f64 v[166:167], v[166:167], v[190:191]
	v_add_f64 v[170:171], v[170:171], v[184:185]
	v_mul_f64 v[184:185], v[229:230], s[34:35]
	v_add_f64 v[168:169], v[168:169], v[176:177]
	v_mul_f64 v[176:177], v[229:230], s[24:25]
	v_add_f64 v[164:165], v[164:165], v[178:179]
	v_mul_f64 v[178:179], v[225:226], s[20:21]
	v_fma_f64 v[180:181], v[223:224], s[36:37], v[184:185]
	v_fma_f64 v[184:185], v[223:224], s[36:37], -v[184:185]
	v_fma_f64 v[172:173], v[223:224], s[20:21], v[176:177]
	v_fma_f64 v[176:177], v[223:224], s[20:21], -v[176:177]
	v_fma_f64 v[174:175], v[227:228], s[18:19], v[178:179]
	v_fma_f64 v[178:179], v[227:228], s[24:25], v[178:179]
	v_add_f64 v[180:181], v[180:181], v[200:201]
	v_mul_f64 v[200:201], v[229:230], s[26:27]
	v_add_f64 v[184:185], v[184:185], v[196:197]
	v_add_f64 v[176:177], v[176:177], v[186:187]
	v_mul_f64 v[186:187], v[225:226], s[36:37]
	v_add_f64 v[174:175], v[174:175], v[198:199]
	;; [unrolled: 3-line block ×3, first 2 shown]
	v_fma_f64 v[196:197], v[223:224], s[28:29], v[200:201]
	v_mul_f64 v[194:195], v[225:226], s[12:13]
	v_fma_f64 v[182:183], v[227:228], s[38:39], v[186:187]
	v_fma_f64 v[186:187], v[227:228], s[34:35], v[186:187]
	;; [unrolled: 1-line block ×3, first 2 shown]
	v_fma_f64 v[192:193], v[223:224], s[12:13], -v[192:193]
	v_add_f64 v[196:197], v[196:197], v[0:1]
	v_mul_f64 v[0:1], v[225:226], s[28:29]
	v_fma_f64 v[190:191], v[227:228], s[6:7], v[194:195]
	v_fma_f64 v[194:195], v[227:228], s[14:15], v[194:195]
	v_add_f64 v[186:187], v[186:187], v[202:203]
	v_add_f64 v[182:183], v[182:183], v[206:207]
	;; [unrolled: 1-line block ×4, first 2 shown]
	v_fma_f64 v[198:199], v[227:228], s[30:31], v[0:1]
	v_fma_f64 v[0:1], v[227:228], s[26:27], v[0:1]
	v_add_f64 v[190:191], v[190:191], v[219:220]
	v_add_f64 v[194:195], v[194:195], v[211:212]
	;; [unrolled: 1-line block ×4, first 2 shown]
	v_mul_f64 v[0:1], v[229:230], s[22:23]
	v_fma_f64 v[4:5], v[223:224], s[28:29], -v[200:201]
	v_fma_f64 v[2:3], v[223:224], s[16:17], v[0:1]
	v_fma_f64 v[0:1], v[223:224], s[16:17], -v[0:1]
	v_add_f64 v[200:201], v[4:5], v[6:7]
	v_add_f64 v[204:205], v[2:3], v[213:214]
	v_mul_f64 v[2:3], v[225:226], s[16:17]
	v_add_f64 v[209:210], v[0:1], v[10:11]
	v_fma_f64 v[4:5], v[227:228], s[2:3], v[2:3]
	v_fma_f64 v[0:1], v[227:228], s[22:23], v[2:3]
	v_add_f64 v[206:207], v[4:5], v[8:9]
	v_add_f64 v[211:212], v[0:1], v[221:222]
	ds_write_b128 v218, v[160:163]
	ds_write_b128 v218, v[164:167] offset:16
	ds_write_b128 v218, v[172:175] offset:32
	;; [unrolled: 1-line block ×12, first 2 shown]
	s_waitcnt lgkmcnt(0)
	; wave barrier
	s_waitcnt lgkmcnt(0)
	ds_read_b128 v[160:163], v215
	ds_read_b128 v[164:167], v215 offset:832
	ds_read_b128 v[168:171], v215 offset:1664
	;; [unrolled: 1-line block ×12, first 2 shown]
	s_waitcnt lgkmcnt(10)
	v_mul_f64 v[4:5], v[122:123], v[170:171]
	v_mul_f64 v[2:3], v[126:127], v[164:165]
	;; [unrolled: 1-line block ×3, first 2 shown]
	s_waitcnt lgkmcnt(0)
	v_mul_f64 v[6:7], v[158:159], v[222:223]
	; wave barrier
	v_fma_f64 v[176:177], v[120:121], v[168:169], v[4:5]
	v_mul_f64 v[4:5], v[122:123], v[168:169]
	v_fma_f64 v[2:3], v[124:125], v[166:167], -v[2:3]
	v_fma_f64 v[0:1], v[124:125], v[164:165], v[0:1]
	v_fma_f64 v[6:7], v[156:157], v[224:225], -v[6:7]
	v_fma_f64 v[174:175], v[120:121], v[170:171], -v[4:5]
	v_mul_f64 v[4:5], v[118:119], v[180:181]
	v_add_f64 v[10:11], v[162:163], v[2:3]
	v_add_f64 v[8:9], v[160:161], v[0:1]
	v_fma_f64 v[172:173], v[116:117], v[178:179], v[4:5]
	v_mul_f64 v[4:5], v[118:119], v[178:179]
	v_add_f64 v[10:11], v[10:11], v[174:175]
	v_add_f64 v[8:9], v[8:9], v[176:177]
	v_fma_f64 v[170:171], v[116:117], v[180:181], -v[4:5]
	v_mul_f64 v[4:5], v[114:115], v[184:185]
	v_add_f64 v[8:9], v[8:9], v[172:173]
	v_add_f64 v[10:11], v[10:11], v[170:171]
	v_fma_f64 v[168:169], v[112:113], v[182:183], v[4:5]
	v_mul_f64 v[4:5], v[114:115], v[182:183]
	v_add_f64 v[8:9], v[8:9], v[168:169]
	v_fma_f64 v[166:167], v[112:113], v[184:185], -v[4:5]
	v_mul_f64 v[4:5], v[138:139], v[188:189]
	v_add_f64 v[10:11], v[10:11], v[166:167]
	v_fma_f64 v[164:165], v[136:137], v[186:187], v[4:5]
	v_mul_f64 v[4:5], v[138:139], v[186:187]
	v_add_f64 v[8:9], v[8:9], v[164:165]
	v_fma_f64 v[124:125], v[136:137], v[188:189], -v[4:5]
	v_mul_f64 v[4:5], v[134:135], v[192:193]
	;; [unrolled: 6-line block ×8, first 2 shown]
	v_add_f64 v[10:11], v[10:11], v[138:139]
	v_fma_f64 v[4:5], v[156:157], v[222:223], v[4:5]
	v_add_f64 v[114:115], v[10:11], v[6:7]
	v_add_f64 v[10:11], v[2:3], v[6:7]
	v_add_f64 v[2:3], v[2:3], -v[6:7]
	v_add_f64 v[112:113], v[8:9], v[4:5]
	v_add_f64 v[8:9], v[0:1], v[4:5]
	v_add_f64 v[0:1], v[0:1], -v[4:5]
	v_mul_f64 v[142:143], v[10:11], s[20:21]
	v_mul_f64 v[4:5], v[2:3], s[18:19]
	;; [unrolled: 1-line block ×12, first 2 shown]
	v_fma_f64 v[6:7], v[8:9], s[20:21], v[4:5]
	v_fma_f64 v[144:145], v[0:1], s[24:25], v[142:143]
	v_fma_f64 v[4:5], v[8:9], s[20:21], -v[4:5]
	v_fma_f64 v[142:143], v[0:1], s[18:19], v[142:143]
	v_fma_f64 v[148:149], v[8:9], s[12:13], v[146:147]
	v_fma_f64 v[152:153], v[0:1], s[14:15], v[150:151]
	v_fma_f64 v[146:147], v[8:9], s[12:13], -v[146:147]
	v_fma_f64 v[150:151], v[0:1], s[6:7], v[150:151]
	;; [unrolled: 4-line block ×6, first 2 shown]
	v_add_f64 v[10:11], v[174:175], v[138:139]
	v_add_f64 v[138:139], v[174:175], -v[138:139]
	v_add_f64 v[6:7], v[160:161], v[6:7]
	v_add_f64 v[4:5], v[160:161], v[4:5]
	v_add_f64 v[148:149], v[160:161], v[148:149]
	v_add_f64 v[146:147], v[160:161], v[146:147]
	v_add_f64 v[156:157], v[160:161], v[156:157]
	v_add_f64 v[154:155], v[160:161], v[154:155]
	v_add_f64 v[182:183], v[160:161], v[182:183]
	v_add_f64 v[180:181], v[160:161], v[180:181]
	v_add_f64 v[190:191], v[160:161], v[190:191]
	v_add_f64 v[188:189], v[160:161], v[188:189]
	v_add_f64 v[196:197], v[160:161], v[196:197]
	v_add_f64 v[2:3], v[160:161], v[2:3]
	v_add_f64 v[8:9], v[176:177], v[140:141]
	v_mul_f64 v[160:161], v[138:139], s[6:7]
	v_add_f64 v[144:145], v[162:163], v[144:145]
	v_add_f64 v[142:143], v[162:163], v[142:143]
	;; [unrolled: 1-line block ×12, first 2 shown]
	v_fma_f64 v[162:163], v[8:9], s[12:13], v[160:161]
	v_add_f64 v[140:141], v[176:177], -v[140:141]
	v_fma_f64 v[160:161], v[8:9], s[12:13], -v[160:161]
	v_mul_f64 v[176:177], v[10:11], s[36:37]
	v_add_f64 v[6:7], v[162:163], v[6:7]
	v_mul_f64 v[162:163], v[10:11], s[12:13]
	v_add_f64 v[4:5], v[160:161], v[4:5]
	v_fma_f64 v[160:161], v[140:141], s[6:7], v[162:163]
	v_fma_f64 v[174:175], v[140:141], s[14:15], v[162:163]
	v_add_f64 v[142:143], v[160:161], v[142:143]
	v_mul_f64 v[160:161], v[138:139], s[26:27]
	v_add_f64 v[144:145], v[174:175], v[144:145]
	v_fma_f64 v[162:163], v[8:9], s[28:29], v[160:161]
	v_fma_f64 v[160:161], v[8:9], s[28:29], -v[160:161]
	v_add_f64 v[148:149], v[162:163], v[148:149]
	v_mul_f64 v[162:163], v[10:11], s[28:29]
	v_add_f64 v[146:147], v[160:161], v[146:147]
	v_fma_f64 v[160:161], v[140:141], s[26:27], v[162:163]
	v_fma_f64 v[174:175], v[140:141], s[30:31], v[162:163]
	v_add_f64 v[150:151], v[160:161], v[150:151]
	v_mul_f64 v[160:161], v[138:139], s[40:41]
	v_add_f64 v[152:153], v[174:175], v[152:153]
	v_fma_f64 v[162:163], v[8:9], s[42:43], v[160:161]
	v_fma_f64 v[160:161], v[8:9], s[42:43], -v[160:161]
	v_add_f64 v[156:157], v[162:163], v[156:157]
	v_mul_f64 v[162:163], v[10:11], s[42:43]
	v_add_f64 v[154:155], v[160:161], v[154:155]
	v_fma_f64 v[160:161], v[140:141], s[40:41], v[162:163]
	v_fma_f64 v[174:175], v[140:141], s[44:45], v[162:163]
	v_add_f64 v[158:159], v[160:161], v[158:159]
	v_mul_f64 v[160:161], v[138:139], s[38:39]
	v_add_f64 v[174:175], v[174:175], v[178:179]
	v_fma_f64 v[178:179], v[140:141], s[34:35], v[176:177]
	v_fma_f64 v[176:177], v[140:141], s[38:39], v[176:177]
	;; [unrolled: 1-line block ×3, first 2 shown]
	v_fma_f64 v[160:161], v[8:9], s[36:37], -v[160:161]
	v_add_f64 v[178:179], v[178:179], v[186:187]
	v_add_f64 v[176:177], v[176:177], v[184:185]
	v_mul_f64 v[184:185], v[10:11], s[16:17]
	v_mul_f64 v[10:11], v[10:11], s[20:21]
	v_add_f64 v[162:163], v[162:163], v[182:183]
	v_add_f64 v[160:161], v[160:161], v[180:181]
	v_mul_f64 v[180:181], v[138:139], s[22:23]
	v_mul_f64 v[138:139], v[138:139], s[24:25]
	v_fma_f64 v[186:187], v[140:141], s[2:3], v[184:185]
	v_fma_f64 v[184:185], v[140:141], s[22:23], v[184:185]
	;; [unrolled: 1-line block ×3, first 2 shown]
	v_fma_f64 v[180:181], v[8:9], s[16:17], -v[180:181]
	v_add_f64 v[186:187], v[186:187], v[194:195]
	v_add_f64 v[184:185], v[184:185], v[192:193]
	;; [unrolled: 1-line block ×4, first 2 shown]
	v_fma_f64 v[188:189], v[8:9], s[20:21], v[138:139]
	v_fma_f64 v[8:9], v[8:9], s[20:21], -v[138:139]
	v_fma_f64 v[190:191], v[140:141], s[18:19], v[10:11]
	v_add_f64 v[188:189], v[188:189], v[196:197]
	v_add_f64 v[2:3], v[8:9], v[2:3]
	v_fma_f64 v[8:9], v[140:141], s[24:25], v[10:11]
	v_add_f64 v[10:11], v[170:171], v[134:135]
	v_add_f64 v[134:135], v[170:171], -v[134:135]
	v_add_f64 v[190:191], v[190:191], v[198:199]
	v_add_f64 v[0:1], v[8:9], v[0:1]
	;; [unrolled: 1-line block ×3, first 2 shown]
	v_mul_f64 v[138:139], v[134:135], s[2:3]
	v_add_f64 v[136:137], v[172:173], -v[136:137]
	v_fma_f64 v[140:141], v[8:9], s[16:17], v[138:139]
	v_fma_f64 v[138:139], v[8:9], s[16:17], -v[138:139]
	v_add_f64 v[6:7], v[140:141], v[6:7]
	v_mul_f64 v[140:141], v[10:11], s[16:17]
	v_add_f64 v[4:5], v[138:139], v[4:5]
	v_fma_f64 v[170:171], v[136:137], s[22:23], v[140:141]
	v_fma_f64 v[138:139], v[136:137], s[2:3], v[140:141]
	v_mul_f64 v[140:141], v[134:135], s[40:41]
	v_add_f64 v[144:145], v[170:171], v[144:145]
	v_add_f64 v[138:139], v[138:139], v[142:143]
	v_fma_f64 v[142:143], v[8:9], s[42:43], v[140:141]
	v_fma_f64 v[140:141], v[8:9], s[42:43], -v[140:141]
	v_add_f64 v[142:143], v[142:143], v[148:149]
	v_mul_f64 v[148:149], v[10:11], s[42:43]
	v_add_f64 v[140:141], v[140:141], v[146:147]
	v_fma_f64 v[170:171], v[136:137], s[44:45], v[148:149]
	v_fma_f64 v[146:147], v[136:137], s[40:41], v[148:149]
	v_mul_f64 v[148:149], v[134:135], s[30:31]
	v_add_f64 v[152:153], v[170:171], v[152:153]
	v_add_f64 v[146:147], v[146:147], v[150:151]
	;; [unrolled: 10-line block ×3, first 2 shown]
	v_fma_f64 v[158:159], v[8:9], s[20:21], v[156:157]
	v_fma_f64 v[156:157], v[8:9], s[20:21], -v[156:157]
	v_add_f64 v[158:159], v[158:159], v[162:163]
	v_mul_f64 v[162:163], v[10:11], s[20:21]
	v_add_f64 v[156:157], v[156:157], v[160:161]
	v_fma_f64 v[172:173], v[136:137], s[18:19], v[162:163]
	v_fma_f64 v[160:161], v[136:137], s[24:25], v[162:163]
	v_mul_f64 v[162:163], v[134:135], s[6:7]
	v_mul_f64 v[134:135], v[134:135], s[34:35]
	v_add_f64 v[172:173], v[172:173], v[178:179]
	v_add_f64 v[160:161], v[160:161], v[176:177]
	v_fma_f64 v[174:175], v[8:9], s[12:13], v[162:163]
	v_fma_f64 v[162:163], v[8:9], s[12:13], -v[162:163]
	v_mul_f64 v[176:177], v[10:11], s[12:13]
	v_mul_f64 v[10:11], v[10:11], s[36:37]
	v_add_f64 v[174:175], v[174:175], v[182:183]
	v_add_f64 v[162:163], v[162:163], v[180:181]
	v_fma_f64 v[180:181], v[8:9], s[36:37], v[134:135]
	v_fma_f64 v[8:9], v[8:9], s[36:37], -v[134:135]
	v_fma_f64 v[182:183], v[136:137], s[38:39], v[10:11]
	v_fma_f64 v[178:179], v[136:137], s[14:15], v[176:177]
	;; [unrolled: 1-line block ×3, first 2 shown]
	v_add_f64 v[180:181], v[180:181], v[188:189]
	v_add_f64 v[2:3], v[8:9], v[2:3]
	v_fma_f64 v[8:9], v[136:137], s[34:35], v[10:11]
	v_add_f64 v[10:11], v[166:167], v[130:131]
	v_add_f64 v[130:131], v[166:167], -v[130:131]
	v_add_f64 v[176:177], v[176:177], v[184:185]
	v_add_f64 v[178:179], v[178:179], v[186:187]
	;; [unrolled: 1-line block ×5, first 2 shown]
	v_mul_f64 v[134:135], v[130:131], s[26:27]
	v_add_f64 v[132:133], v[168:169], -v[132:133]
	v_fma_f64 v[136:137], v[8:9], s[28:29], v[134:135]
	v_fma_f64 v[134:135], v[8:9], s[28:29], -v[134:135]
	v_add_f64 v[6:7], v[136:137], v[6:7]
	v_mul_f64 v[136:137], v[10:11], s[28:29]
	v_add_f64 v[4:5], v[134:135], v[4:5]
	v_fma_f64 v[166:167], v[132:133], s[30:31], v[136:137]
	v_fma_f64 v[134:135], v[132:133], s[26:27], v[136:137]
	v_mul_f64 v[136:137], v[130:131], s[38:39]
	v_add_f64 v[144:145], v[166:167], v[144:145]
	v_add_f64 v[134:135], v[134:135], v[138:139]
	v_fma_f64 v[138:139], v[8:9], s[36:37], v[136:137]
	v_fma_f64 v[136:137], v[8:9], s[36:37], -v[136:137]
	v_add_f64 v[138:139], v[138:139], v[142:143]
	v_mul_f64 v[142:143], v[10:11], s[36:37]
	v_add_f64 v[136:137], v[136:137], v[140:141]
	v_fma_f64 v[166:167], v[132:133], s[34:35], v[142:143]
	v_fma_f64 v[140:141], v[132:133], s[38:39], v[142:143]
	v_mul_f64 v[142:143], v[130:131], s[24:25]
	v_add_f64 v[152:153], v[166:167], v[152:153]
	v_add_f64 v[140:141], v[140:141], v[146:147]
	v_fma_f64 v[146:147], v[8:9], s[20:21], v[142:143]
	v_fma_f64 v[142:143], v[8:9], s[20:21], -v[142:143]
	v_add_f64 v[146:147], v[146:147], v[150:151]
	v_mul_f64 v[150:151], v[10:11], s[20:21]
	v_add_f64 v[142:143], v[142:143], v[148:149]
	v_fma_f64 v[166:167], v[132:133], s[18:19], v[150:151]
	v_fma_f64 v[148:149], v[132:133], s[24:25], v[150:151]
	v_mul_f64 v[150:151], v[130:131], s[2:3]
	v_add_f64 v[166:167], v[166:167], v[170:171]
	v_add_f64 v[148:149], v[148:149], v[154:155]
	v_fma_f64 v[154:155], v[8:9], s[16:17], v[150:151]
	v_fma_f64 v[150:151], v[8:9], s[16:17], -v[150:151]
	v_mul_f64 v[170:171], v[10:11], s[42:43]
	v_add_f64 v[154:155], v[154:155], v[158:159]
	v_mul_f64 v[158:159], v[10:11], s[16:17]
	v_add_f64 v[150:151], v[150:151], v[156:157]
	v_mul_f64 v[10:11], v[10:11], s[12:13]
	v_fma_f64 v[168:169], v[132:133], s[22:23], v[158:159]
	v_fma_f64 v[156:157], v[132:133], s[2:3], v[158:159]
	v_mul_f64 v[158:159], v[130:131], s[44:45]
	v_mul_f64 v[130:131], v[130:131], s[14:15]
	v_add_f64 v[168:169], v[168:169], v[172:173]
	v_add_f64 v[156:157], v[156:157], v[160:161]
	v_fma_f64 v[160:161], v[8:9], s[42:43], v[158:159]
	v_fma_f64 v[158:159], v[8:9], s[42:43], -v[158:159]
	v_fma_f64 v[172:173], v[132:133], s[40:41], v[170:171]
	v_add_f64 v[160:161], v[160:161], v[174:175]
	v_add_f64 v[158:159], v[158:159], v[162:163]
	v_fma_f64 v[162:163], v[132:133], s[44:45], v[170:171]
	v_fma_f64 v[170:171], v[8:9], s[12:13], v[130:131]
	v_fma_f64 v[8:9], v[8:9], s[12:13], -v[130:131]
	v_fma_f64 v[174:175], v[132:133], s[6:7], v[10:11]
	v_add_f64 v[172:173], v[172:173], v[178:179]
	v_add_f64 v[162:163], v[162:163], v[176:177]
	;; [unrolled: 1-line block ×4, first 2 shown]
	v_fma_f64 v[8:9], v[132:133], s[14:15], v[10:11]
	v_add_f64 v[10:11], v[124:125], v[126:127]
	v_add_f64 v[124:125], v[124:125], -v[126:127]
	v_add_f64 v[174:175], v[174:175], v[182:183]
	v_add_f64 v[0:1], v[8:9], v[0:1]
	;; [unrolled: 1-line block ×3, first 2 shown]
	v_mul_f64 v[126:127], v[124:125], s[34:35]
	v_add_f64 v[128:129], v[164:165], -v[128:129]
	v_fma_f64 v[130:131], v[8:9], s[36:37], v[126:127]
	v_fma_f64 v[126:127], v[8:9], s[36:37], -v[126:127]
	v_add_f64 v[6:7], v[130:131], v[6:7]
	v_mul_f64 v[130:131], v[10:11], s[36:37]
	v_add_f64 v[4:5], v[126:127], v[4:5]
	v_fma_f64 v[132:133], v[128:129], s[38:39], v[130:131]
	v_fma_f64 v[126:127], v[128:129], s[34:35], v[130:131]
	v_mul_f64 v[130:131], v[124:125], s[22:23]
	v_add_f64 v[132:133], v[132:133], v[144:145]
	v_add_f64 v[126:127], v[126:127], v[134:135]
	v_fma_f64 v[134:135], v[8:9], s[16:17], v[130:131]
	v_fma_f64 v[130:131], v[8:9], s[16:17], -v[130:131]
	v_add_f64 v[134:135], v[134:135], v[138:139]
	v_mul_f64 v[138:139], v[10:11], s[16:17]
	v_add_f64 v[130:131], v[130:131], v[136:137]
	v_fma_f64 v[144:145], v[128:129], s[2:3], v[138:139]
	v_fma_f64 v[136:137], v[128:129], s[22:23], v[138:139]
	v_mul_f64 v[138:139], v[124:125], s[6:7]
	v_add_f64 v[144:145], v[144:145], v[152:153]
	v_add_f64 v[136:137], v[136:137], v[140:141]
	;; [unrolled: 10-line block ×3, first 2 shown]
	v_fma_f64 v[148:149], v[8:9], s[42:43], v[146:147]
	v_fma_f64 v[146:147], v[8:9], s[42:43], -v[146:147]
	v_add_f64 v[148:149], v[148:149], v[154:155]
	v_mul_f64 v[154:155], v[10:11], s[42:43]
	v_add_f64 v[146:147], v[146:147], v[150:151]
	v_fma_f64 v[164:165], v[128:129], s[40:41], v[154:155]
	v_fma_f64 v[150:151], v[128:129], s[44:45], v[154:155]
	v_mul_f64 v[154:155], v[124:125], s[24:25]
	v_mul_f64 v[124:125], v[124:125], s[26:27]
	v_add_f64 v[164:165], v[164:165], v[168:169]
	v_add_f64 v[150:151], v[150:151], v[156:157]
	v_fma_f64 v[156:157], v[8:9], s[20:21], v[154:155]
	v_fma_f64 v[154:155], v[8:9], s[20:21], -v[154:155]
	v_add_f64 v[168:169], v[120:121], -v[122:123]
	v_add_f64 v[156:157], v[156:157], v[160:161]
	v_mul_f64 v[160:161], v[10:11], s[20:21]
	v_add_f64 v[154:155], v[154:155], v[158:159]
	v_mul_f64 v[10:11], v[10:11], s[28:29]
	v_fma_f64 v[166:167], v[128:129], s[18:19], v[160:161]
	v_fma_f64 v[158:159], v[128:129], s[24:25], v[160:161]
	;; [unrolled: 1-line block ×3, first 2 shown]
	v_fma_f64 v[8:9], v[8:9], s[28:29], -v[124:125]
	v_add_f64 v[166:167], v[166:167], v[172:173]
	v_add_f64 v[158:159], v[158:159], v[162:163]
	;; [unrolled: 1-line block ×4, first 2 shown]
	v_fma_f64 v[8:9], v[128:129], s[26:27], v[10:11]
	v_add_f64 v[170:171], v[116:117], -v[118:119]
	v_fma_f64 v[162:163], v[128:129], s[30:31], v[10:11]
	v_add_f64 v[10:11], v[116:117], v[118:119]
	v_add_f64 v[0:1], v[8:9], v[0:1]
	;; [unrolled: 1-line block ×3, first 2 shown]
	v_mul_f64 v[116:117], v[170:171], s[40:41]
	v_add_f64 v[162:163], v[162:163], v[174:175]
	v_fma_f64 v[118:119], v[8:9], s[42:43], v[116:117]
	v_fma_f64 v[116:117], v[8:9], s[42:43], -v[116:117]
	v_add_f64 v[120:121], v[118:119], v[6:7]
	v_mul_f64 v[6:7], v[10:11], s[42:43]
	v_add_f64 v[116:117], v[116:117], v[4:5]
	v_fma_f64 v[118:119], v[168:169], s[44:45], v[6:7]
	v_fma_f64 v[4:5], v[168:169], s[40:41], v[6:7]
	v_add_f64 v[122:123], v[118:119], v[132:133]
	v_add_f64 v[118:119], v[4:5], v[126:127]
	v_mul_f64 v[4:5], v[170:171], s[24:25]
	v_fma_f64 v[6:7], v[8:9], s[20:21], v[4:5]
	v_fma_f64 v[4:5], v[8:9], s[20:21], -v[4:5]
	v_add_f64 v[124:125], v[6:7], v[134:135]
	v_mul_f64 v[6:7], v[10:11], s[20:21]
	v_add_f64 v[128:129], v[4:5], v[130:131]
	v_fma_f64 v[4:5], v[168:169], s[24:25], v[6:7]
	v_fma_f64 v[126:127], v[168:169], s[18:19], v[6:7]
	v_add_f64 v[130:131], v[4:5], v[136:137]
	v_mul_f64 v[4:5], v[170:171], s[34:35]
	v_add_f64 v[126:127], v[126:127], v[144:145]
	v_fma_f64 v[6:7], v[8:9], s[36:37], v[4:5]
	v_fma_f64 v[4:5], v[8:9], s[36:37], -v[4:5]
	v_add_f64 v[132:133], v[6:7], v[140:141]
	v_mul_f64 v[6:7], v[10:11], s[36:37]
	v_add_f64 v[136:137], v[4:5], v[138:139]
	v_fma_f64 v[4:5], v[168:169], s[34:35], v[6:7]
	v_fma_f64 v[134:135], v[168:169], s[38:39], v[6:7]
	v_add_f64 v[138:139], v[4:5], v[142:143]
	v_mul_f64 v[4:5], v[170:171], s[14:15]
	v_add_f64 v[134:135], v[134:135], v[152:153]
	;; [unrolled: 10-line block ×4, first 2 shown]
	v_fma_f64 v[6:7], v[8:9], s[16:17], v[4:5]
	v_fma_f64 v[4:5], v[8:9], s[16:17], -v[4:5]
	v_add_f64 v[156:157], v[6:7], v[160:161]
	v_mul_f64 v[6:7], v[10:11], s[16:17]
	v_add_f64 v[160:161], v[4:5], v[2:3]
	v_fma_f64 v[10:11], v[168:169], s[2:3], v[6:7]
	v_fma_f64 v[2:3], v[168:169], s[22:23], v[6:7]
	v_add_f64 v[158:159], v[10:11], v[162:163]
	v_add_f64 v[162:163], v[2:3], v[0:1]
	ds_write_b128 v217, v[112:115]
	ds_write_b128 v217, v[120:123] offset:208
	ds_write_b128 v217, v[124:127] offset:416
	;; [unrolled: 1-line block ×12, first 2 shown]
	s_waitcnt lgkmcnt(0)
	; wave barrier
	s_waitcnt lgkmcnt(0)
	ds_read_b128 v[124:127], v215
	ds_read_b128 v[156:159], v215 offset:2704
	ds_read_b128 v[152:155], v215 offset:5408
	;; [unrolled: 1-line block ×11, first 2 shown]
	s_and_saveexec_b64 s[2:3], s[0:1]
	s_cbranch_execz .LBB0_7
; %bb.6:
	ds_read_b128 v[116:119], v215 offset:2496
	ds_read_b128 v[108:111], v215 offset:5200
	;; [unrolled: 1-line block ×4, first 2 shown]
.LBB0_7:
	s_or_b64 exec, exec, s[2:3]
	s_waitcnt lgkmcnt(10)
	v_mul_f64 v[0:1], v[82:83], v[158:159]
	s_waitcnt lgkmcnt(9)
	v_mul_f64 v[4:5], v[78:79], v[154:155]
	;; [unrolled: 2-line block ×3, first 2 shown]
	v_mul_f64 v[2:3], v[82:83], v[156:157]
	v_mul_f64 v[6:7], v[78:79], v[152:153]
	;; [unrolled: 1-line block ×3, first 2 shown]
	s_waitcnt lgkmcnt(6)
	v_mul_f64 v[74:75], v[94:95], v[162:163]
	v_mul_f64 v[78:79], v[94:95], v[160:161]
	v_fma_f64 v[0:1], v[80:81], v[156:157], v[0:1]
	v_fma_f64 v[4:5], v[76:77], v[152:153], v[4:5]
	;; [unrolled: 1-line block ×3, first 2 shown]
	v_fma_f64 v[2:3], v[80:81], v[158:159], -v[2:3]
	v_fma_f64 v[6:7], v[76:77], v[154:155], -v[6:7]
	;; [unrolled: 1-line block ×3, first 2 shown]
	v_fma_f64 v[72:73], v[92:93], v[160:161], v[74:75]
	v_fma_f64 v[74:75], v[92:93], v[162:163], -v[78:79]
	s_waitcnt lgkmcnt(5)
	v_mul_f64 v[76:77], v[70:71], v[146:147]
	v_mul_f64 v[70:71], v[70:71], v[144:145]
	s_waitcnt lgkmcnt(4)
	v_mul_f64 v[78:79], v[62:63], v[142:143]
	v_mul_f64 v[62:63], v[62:63], v[140:141]
	v_add_f64 v[4:5], v[124:125], -v[4:5]
	v_add_f64 v[8:9], v[0:1], -v[8:9]
	;; [unrolled: 1-line block ×4, first 2 shown]
	v_fma_f64 v[76:77], v[68:69], v[144:145], v[76:77]
	v_fma_f64 v[68:69], v[68:69], v[146:147], -v[70:71]
	v_fma_f64 v[70:71], v[60:61], v[140:141], v[78:79]
	v_fma_f64 v[78:79], v[60:61], v[142:143], -v[62:63]
	v_fma_f64 v[62:63], v[124:125], 2.0, -v[4:5]
	v_fma_f64 v[0:1], v[0:1], 2.0, -v[8:9]
	;; [unrolled: 1-line block ×4, first 2 shown]
	s_waitcnt lgkmcnt(2)
	v_mul_f64 v[82:83], v[66:67], v[130:131]
	v_mul_f64 v[66:67], v[66:67], v[128:129]
	s_waitcnt lgkmcnt(1)
	v_mul_f64 v[92:93], v[58:59], v[134:135]
	v_mul_f64 v[94:95], v[58:59], v[132:133]
	s_waitcnt lgkmcnt(0)
	v_mul_f64 v[124:125], v[54:55], v[138:139]
	v_mul_f64 v[54:55], v[54:55], v[136:137]
	v_add_f64 v[58:59], v[62:63], -v[0:1]
	v_add_f64 v[60:61], v[80:81], -v[2:3]
	v_fma_f64 v[0:1], v[64:65], v[128:129], v[82:83]
	v_fma_f64 v[2:3], v[64:65], v[130:131], -v[66:67]
	v_fma_f64 v[66:67], v[56:57], v[132:133], v[92:93]
	v_fma_f64 v[56:57], v[56:57], v[134:135], -v[94:95]
	;; [unrolled: 2-line block ×3, first 2 shown]
	v_fma_f64 v[52:53], v[62:63], 2.0, -v[58:59]
	v_add_f64 v[62:63], v[4:5], v[10:11]
	v_add_f64 v[64:65], v[6:7], -v[8:9]
	v_add_f64 v[8:9], v[112:113], -v[76:77]
	;; [unrolled: 1-line block ×9, first 2 shown]
	v_fma_f64 v[112:113], v[112:113], 2.0, -v[8:9]
	v_fma_f64 v[114:115], v[114:115], 2.0, -v[10:11]
	;; [unrolled: 1-line block ×8, first 2 shown]
	v_add_f64 v[74:75], v[8:9], v[78:79]
	v_add_f64 v[76:77], v[10:11], -v[76:77]
	v_add_f64 v[70:71], v[112:113], -v[70:71]
	;; [unrolled: 1-line block ×3, first 2 shown]
	v_fma_f64 v[54:55], v[80:81], 2.0, -v[60:61]
	v_add_f64 v[92:93], v[128:129], v[92:93]
	v_add_f64 v[78:79], v[124:125], -v[0:1]
	v_add_f64 v[80:81], v[126:127], -v[2:3]
	;; [unrolled: 1-line block ×3, first 2 shown]
	v_fma_f64 v[66:67], v[4:5], 2.0, -v[62:63]
	v_fma_f64 v[68:69], v[6:7], 2.0, -v[64:65]
	;; [unrolled: 1-line block ×10, first 2 shown]
	ds_write_b128 v215, v[52:55]
	ds_write_b128 v215, v[66:69] offset:2704
	ds_write_b128 v215, v[58:61] offset:5408
	;; [unrolled: 1-line block ×11, first 2 shown]
	s_and_saveexec_b64 s[2:3], s[0:1]
	s_cbranch_execz .LBB0_9
; %bb.8:
	v_mul_f64 v[0:1], v[90:91], v[100:101]
	v_mul_f64 v[2:3], v[98:99], v[110:111]
	;; [unrolled: 1-line block ×6, first 2 shown]
	v_fma_f64 v[0:1], v[88:89], v[102:103], -v[0:1]
	v_fma_f64 v[2:3], v[96:97], v[108:109], v[2:3]
	v_fma_f64 v[4:5], v[96:97], v[110:111], -v[4:5]
	v_fma_f64 v[6:7], v[84:85], v[106:107], -v[6:7]
	v_fma_f64 v[8:9], v[88:89], v[100:101], v[8:9]
	v_fma_f64 v[10:11], v[84:85], v[104:105], v[10:11]
	v_add_f64 v[0:1], v[118:119], -v[0:1]
	v_add_f64 v[6:7], v[4:5], -v[6:7]
	;; [unrolled: 1-line block ×4, first 2 shown]
	v_fma_f64 v[64:65], v[118:119], 2.0, -v[0:1]
	v_fma_f64 v[4:5], v[4:5], 2.0, -v[6:7]
	;; [unrolled: 1-line block ×4, first 2 shown]
	v_add_f64 v[54:55], v[0:1], -v[10:11]
	v_add_f64 v[52:53], v[8:9], v[6:7]
	v_add_f64 v[58:59], v[64:65], -v[4:5]
	v_add_f64 v[56:57], v[68:69], -v[2:3]
	v_fma_f64 v[62:63], v[0:1], 2.0, -v[54:55]
	v_fma_f64 v[60:61], v[8:9], 2.0, -v[52:53]
	;; [unrolled: 1-line block ×4, first 2 shown]
	ds_write_b128 v215, v[60:63] offset:5200
	ds_write_b128 v215, v[56:59] offset:7904
	;; [unrolled: 1-line block ×4, first 2 shown]
.LBB0_9:
	s_or_b64 exec, exec, s[2:3]
	s_waitcnt lgkmcnt(0)
	; wave barrier
	s_waitcnt lgkmcnt(0)
	ds_read_b128 v[52:55], v215
	ds_read_b128 v[56:59], v215 offset:832
	v_mad_u64_u32 v[4:5], s[0:1], s10, v208, 0
	v_mad_u64_u32 v[6:7], s[2:3], s8, v216, 0
	s_waitcnt lgkmcnt(1)
	v_mul_f64 v[2:3], v[50:51], v[52:53]
	v_mul_f64 v[0:1], v[50:51], v[54:55]
	s_mov_b32 s0, 0x7ab2bedd
	v_mad_u64_u32 v[8:9], s[2:3], s11, v208, v[5:6]
	s_mov_b32 s1, 0x3f583c97
	v_mov_b32_e32 v5, v7
	v_mad_u64_u32 v[9:10], s[2:3], s9, v216, v[5:6]
	v_fma_f64 v[2:3], v[48:49], v[54:55], -v[2:3]
	v_fma_f64 v[0:1], v[48:49], v[52:53], v[0:1]
	v_mov_b32_e32 v5, v8
	v_mov_b32_e32 v7, v9
	;; [unrolled: 1-line block ×3, first 2 shown]
	s_mul_i32 s2, s9, 0x340
	s_mul_hi_u32 s3, s8, 0x340
	s_add_i32 s2, s3, s2
	v_mul_f64 v[50:51], v[2:3], s[0:1]
	s_waitcnt lgkmcnt(0)
	v_mul_f64 v[2:3], v[30:31], v[58:59]
	v_mul_f64 v[48:49], v[0:1], s[0:1]
	v_lshlrev_b64 v[0:1], 4, v[4:5]
	v_mul_f64 v[4:5], v[30:31], v[56:57]
	v_add_co_u32_e32 v9, vcc, s4, v0
	v_addc_co_u32_e32 v8, vcc, v8, v1, vcc
	v_fma_f64 v[2:3], v[28:29], v[56:57], v[2:3]
	v_lshlrev_b64 v[0:1], 4, v[6:7]
	ds_read_b128 v[52:55], v215 offset:2496
	v_fma_f64 v[4:5], v[28:29], v[58:59], -v[4:5]
	ds_read_b128 v[28:31], v215 offset:1664
	v_add_co_u32_e32 v0, vcc, v9, v0
	v_addc_co_u32_e32 v1, vcc, v8, v1, vcc
	global_store_dwordx4 v[0:1], v[48:51], off
	s_waitcnt lgkmcnt(0)
	v_mul_f64 v[6:7], v[42:43], v[28:29]
	v_mul_f64 v[48:49], v[2:3], s[0:1]
	;; [unrolled: 1-line block ×5, first 2 shown]
	s_mul_i32 s3, s8, 0x340
	v_mov_b32_e32 v10, s2
	v_add_co_u32_e32 v0, vcc, s3, v0
	v_fma_f64 v[4:5], v[40:41], v[30:31], -v[6:7]
	v_fma_f64 v[2:3], v[40:41], v[28:29], v[2:3]
	v_mul_f64 v[6:7], v[22:23], v[54:55]
	ds_read_b128 v[40:43], v215 offset:3328
	v_addc_co_u32_e32 v1, vcc, v1, v10, vcc
	global_store_dwordx4 v[0:1], v[48:51], off
	v_add_co_u32_e32 v0, vcc, s3, v0
	v_mul_f64 v[28:29], v[2:3], s[0:1]
	v_mul_f64 v[30:31], v[4:5], s[0:1]
	v_fma_f64 v[2:3], v[20:21], v[52:53], v[6:7]
	v_fma_f64 v[4:5], v[20:21], v[54:55], -v[8:9]
	ds_read_b128 v[20:23], v215 offset:4160
	s_waitcnt lgkmcnt(1)
	v_mul_f64 v[6:7], v[14:15], v[42:43]
	v_mul_f64 v[8:9], v[14:15], v[40:41]
	v_addc_co_u32_e32 v1, vcc, v1, v10, vcc
	global_store_dwordx4 v[0:1], v[28:31], off
	v_add_co_u32_e32 v0, vcc, s3, v0
	v_mul_f64 v[28:29], v[2:3], s[0:1]
	v_mul_f64 v[30:31], v[4:5], s[0:1]
	v_fma_f64 v[2:3], v[12:13], v[40:41], v[6:7]
	v_fma_f64 v[4:5], v[12:13], v[42:43], -v[8:9]
	s_waitcnt lgkmcnt(0)
	v_mul_f64 v[6:7], v[46:47], v[22:23]
	v_mul_f64 v[8:9], v[46:47], v[20:21]
	v_addc_co_u32_e32 v1, vcc, v1, v10, vcc
	global_store_dwordx4 v[0:1], v[28:31], off
	ds_read_b128 v[28:31], v215 offset:4992
	v_mul_f64 v[12:13], v[2:3], s[0:1]
	v_mul_f64 v[14:15], v[4:5], s[0:1]
	v_fma_f64 v[2:3], v[44:45], v[20:21], v[6:7]
	v_fma_f64 v[4:5], v[44:45], v[22:23], -v[8:9]
	ds_read_b128 v[20:23], v215 offset:5824
	s_waitcnt lgkmcnt(1)
	v_mul_f64 v[6:7], v[18:19], v[30:31]
	v_mul_f64 v[8:9], v[18:19], v[28:29]
	v_add_co_u32_e32 v0, vcc, s3, v0
	v_addc_co_u32_e32 v1, vcc, v1, v10, vcc
	global_store_dwordx4 v[0:1], v[12:15], off
	v_add_co_u32_e32 v0, vcc, s3, v0
	v_mul_f64 v[12:13], v[2:3], s[0:1]
	v_mul_f64 v[14:15], v[4:5], s[0:1]
	v_fma_f64 v[2:3], v[16:17], v[28:29], v[6:7]
	v_fma_f64 v[4:5], v[16:17], v[30:31], -v[8:9]
	s_waitcnt lgkmcnt(0)
	v_mul_f64 v[6:7], v[38:39], v[22:23]
	v_mul_f64 v[8:9], v[38:39], v[20:21]
	v_addc_co_u32_e32 v1, vcc, v1, v10, vcc
	ds_read_b128 v[16:19], v215 offset:6656
	global_store_dwordx4 v[0:1], v[12:15], off
	v_add_co_u32_e32 v0, vcc, s3, v0
	v_mul_f64 v[12:13], v[2:3], s[0:1]
	v_mul_f64 v[14:15], v[4:5], s[0:1]
	v_fma_f64 v[2:3], v[36:37], v[20:21], v[6:7]
	v_fma_f64 v[4:5], v[36:37], v[22:23], -v[8:9]
	ds_read_b128 v[20:23], v215 offset:7488
	buffer_load_dword v36, off, s[48:51], 0 offset:32 ; 4-byte Folded Reload
	buffer_load_dword v37, off, s[48:51], 0 offset:36 ; 4-byte Folded Reload
	;; [unrolled: 1-line block ×4, first 2 shown]
	v_addc_co_u32_e32 v1, vcc, v1, v10, vcc
	v_mov_b32_e32 v28, s2
	global_store_dwordx4 v[0:1], v[12:15], off
	v_mul_f64 v[10:11], v[2:3], s[0:1]
	v_mul_f64 v[12:13], v[4:5], s[0:1]
	v_add_co_u32_e32 v0, vcc, s3, v0
	v_addc_co_u32_e32 v1, vcc, v1, v28, vcc
	s_waitcnt vmcnt(1) lgkmcnt(1)
	v_mul_f64 v[6:7], v[38:39], v[18:19]
	v_mul_f64 v[8:9], v[38:39], v[16:17]
	v_fma_f64 v[2:3], v[36:37], v[16:17], v[6:7]
	v_fma_f64 v[4:5], v[36:37], v[18:19], -v[8:9]
	buffer_load_dword v36, off, s[48:51], 0 offset:16 ; 4-byte Folded Reload
	buffer_load_dword v37, off, s[48:51], 0 offset:20 ; 4-byte Folded Reload
	;; [unrolled: 1-line block ×4, first 2 shown]
	v_mul_f64 v[6:7], v[2:3], s[0:1]
	global_store_dwordx4 v[0:1], v[10:13], off
	ds_read_b128 v[10:13], v215 offset:8320
	v_mul_f64 v[8:9], v[4:5], s[0:1]
	v_mov_b32_e32 v4, s2
	v_add_co_u32_e32 v0, vcc, s3, v0
	v_addc_co_u32_e32 v1, vcc, v1, v4, vcc
	global_store_dwordx4 v[0:1], v[6:9], off
	v_add_co_u32_e32 v0, vcc, s3, v0
	s_waitcnt vmcnt(2) lgkmcnt(1)
	v_mul_f64 v[14:15], v[38:39], v[22:23]
	v_mul_f64 v[16:17], v[38:39], v[20:21]
	v_fma_f64 v[2:3], v[36:37], v[20:21], v[14:15]
	v_fma_f64 v[18:19], v[36:37], v[22:23], -v[16:17]
	ds_read_b128 v[14:17], v215 offset:9152
	s_waitcnt lgkmcnt(1)
	v_mul_f64 v[20:21], v[34:35], v[12:13]
	v_mul_f64 v[22:23], v[34:35], v[10:11]
	;; [unrolled: 1-line block ×4, first 2 shown]
	v_mov_b32_e32 v18, s2
	v_fma_f64 v[2:3], v[32:33], v[10:11], v[20:21]
	v_fma_f64 v[12:13], v[32:33], v[12:13], -v[22:23]
	ds_read_b128 v[8:11], v215 offset:9984
	buffer_load_dword v29, off, s[48:51], 0 ; 4-byte Folded Reload
	buffer_load_dword v30, off, s[48:51], 0 offset:4 ; 4-byte Folded Reload
	buffer_load_dword v31, off, s[48:51], 0 offset:8 ; 4-byte Folded Reload
	;; [unrolled: 1-line block ×3, first 2 shown]
	v_addc_co_u32_e32 v1, vcc, v1, v18, vcc
	global_store_dwordx4 v[0:1], v[4:7], off
	s_waitcnt lgkmcnt(0)
	v_mul_f64 v[22:23], v[26:27], v[10:11]
	v_mul_f64 v[26:27], v[26:27], v[8:9]
	v_mul_f64 v[2:3], v[2:3], s[0:1]
	v_mul_f64 v[4:5], v[12:13], s[0:1]
	v_fma_f64 v[8:9], v[24:25], v[8:9], v[22:23]
	v_fma_f64 v[10:11], v[24:25], v[10:11], -v[26:27]
	s_waitcnt vmcnt(1)
	v_mul_f64 v[18:19], v[31:32], v[16:17]
	v_mul_f64 v[20:21], v[31:32], v[14:15]
	v_fma_f64 v[6:7], v[29:30], v[14:15], v[18:19]
	v_fma_f64 v[12:13], v[29:30], v[16:17], -v[20:21]
	v_add_co_u32_e32 v14, vcc, s3, v0
	v_addc_co_u32_e32 v15, vcc, v1, v28, vcc
	global_store_dwordx4 v[14:15], v[2:5], off
	v_mul_f64 v[0:1], v[6:7], s[0:1]
	v_mul_f64 v[2:3], v[12:13], s[0:1]
	;; [unrolled: 1-line block ×4, first 2 shown]
	v_mov_b32_e32 v12, s2
	v_add_co_u32_e32 v8, vcc, s3, v14
	v_addc_co_u32_e32 v9, vcc, v15, v12, vcc
	global_store_dwordx4 v[8:9], v[0:3], off
	s_nop 0
	v_mov_b32_e32 v1, s2
	v_add_co_u32_e32 v0, vcc, s3, v8
	v_addc_co_u32_e32 v1, vcc, v9, v1, vcc
	global_store_dwordx4 v[0:1], v[4:7], off
.LBB0_10:
	s_endpgm
	.section	.rodata,"a",@progbits
	.p2align	6, 0x0
	.amdhsa_kernel bluestein_single_fwd_len676_dim1_dp_op_CI_CI
		.amdhsa_group_segment_fixed_size 10816
		.amdhsa_private_segment_fixed_size 52
		.amdhsa_kernarg_size 104
		.amdhsa_user_sgpr_count 6
		.amdhsa_user_sgpr_private_segment_buffer 1
		.amdhsa_user_sgpr_dispatch_ptr 0
		.amdhsa_user_sgpr_queue_ptr 0
		.amdhsa_user_sgpr_kernarg_segment_ptr 1
		.amdhsa_user_sgpr_dispatch_id 0
		.amdhsa_user_sgpr_flat_scratch_init 0
		.amdhsa_user_sgpr_private_segment_size 0
		.amdhsa_uses_dynamic_stack 0
		.amdhsa_system_sgpr_private_segment_wavefront_offset 1
		.amdhsa_system_sgpr_workgroup_id_x 1
		.amdhsa_system_sgpr_workgroup_id_y 0
		.amdhsa_system_sgpr_workgroup_id_z 0
		.amdhsa_system_sgpr_workgroup_info 0
		.amdhsa_system_vgpr_workitem_id 0
		.amdhsa_next_free_vgpr 255
		.amdhsa_next_free_sgpr 52
		.amdhsa_reserve_vcc 1
		.amdhsa_reserve_flat_scratch 0
		.amdhsa_float_round_mode_32 0
		.amdhsa_float_round_mode_16_64 0
		.amdhsa_float_denorm_mode_32 3
		.amdhsa_float_denorm_mode_16_64 3
		.amdhsa_dx10_clamp 1
		.amdhsa_ieee_mode 1
		.amdhsa_fp16_overflow 0
		.amdhsa_exception_fp_ieee_invalid_op 0
		.amdhsa_exception_fp_denorm_src 0
		.amdhsa_exception_fp_ieee_div_zero 0
		.amdhsa_exception_fp_ieee_overflow 0
		.amdhsa_exception_fp_ieee_underflow 0
		.amdhsa_exception_fp_ieee_inexact 0
		.amdhsa_exception_int_div_zero 0
	.end_amdhsa_kernel
	.text
.Lfunc_end0:
	.size	bluestein_single_fwd_len676_dim1_dp_op_CI_CI, .Lfunc_end0-bluestein_single_fwd_len676_dim1_dp_op_CI_CI
                                        ; -- End function
	.section	.AMDGPU.csdata,"",@progbits
; Kernel info:
; codeLenInByte = 21580
; NumSgprs: 56
; NumVgprs: 255
; ScratchSize: 52
; MemoryBound: 0
; FloatMode: 240
; IeeeMode: 1
; LDSByteSize: 10816 bytes/workgroup (compile time only)
; SGPRBlocks: 6
; VGPRBlocks: 63
; NumSGPRsForWavesPerEU: 56
; NumVGPRsForWavesPerEU: 255
; Occupancy: 1
; WaveLimiterHint : 1
; COMPUTE_PGM_RSRC2:SCRATCH_EN: 1
; COMPUTE_PGM_RSRC2:USER_SGPR: 6
; COMPUTE_PGM_RSRC2:TRAP_HANDLER: 0
; COMPUTE_PGM_RSRC2:TGID_X_EN: 1
; COMPUTE_PGM_RSRC2:TGID_Y_EN: 0
; COMPUTE_PGM_RSRC2:TGID_Z_EN: 0
; COMPUTE_PGM_RSRC2:TIDIG_COMP_CNT: 0
	.type	__hip_cuid_2540baa02c11eeac,@object ; @__hip_cuid_2540baa02c11eeac
	.section	.bss,"aw",@nobits
	.globl	__hip_cuid_2540baa02c11eeac
__hip_cuid_2540baa02c11eeac:
	.byte	0                               ; 0x0
	.size	__hip_cuid_2540baa02c11eeac, 1

	.ident	"AMD clang version 19.0.0git (https://github.com/RadeonOpenCompute/llvm-project roc-6.4.0 25133 c7fe45cf4b819c5991fe208aaa96edf142730f1d)"
	.section	".note.GNU-stack","",@progbits
	.addrsig
	.addrsig_sym __hip_cuid_2540baa02c11eeac
	.amdgpu_metadata
---
amdhsa.kernels:
  - .args:
      - .actual_access:  read_only
        .address_space:  global
        .offset:         0
        .size:           8
        .value_kind:     global_buffer
      - .actual_access:  read_only
        .address_space:  global
        .offset:         8
        .size:           8
        .value_kind:     global_buffer
      - .actual_access:  read_only
        .address_space:  global
        .offset:         16
        .size:           8
        .value_kind:     global_buffer
      - .actual_access:  read_only
        .address_space:  global
        .offset:         24
        .size:           8
        .value_kind:     global_buffer
      - .actual_access:  read_only
        .address_space:  global
        .offset:         32
        .size:           8
        .value_kind:     global_buffer
      - .offset:         40
        .size:           8
        .value_kind:     by_value
      - .address_space:  global
        .offset:         48
        .size:           8
        .value_kind:     global_buffer
      - .address_space:  global
        .offset:         56
        .size:           8
        .value_kind:     global_buffer
      - .address_space:  global
        .offset:         64
        .size:           8
        .value_kind:     global_buffer
      - .address_space:  global
        .offset:         72
        .size:           8
        .value_kind:     global_buffer
      - .offset:         80
        .size:           4
        .value_kind:     by_value
      - .address_space:  global
        .offset:         88
        .size:           8
        .value_kind:     global_buffer
      - .address_space:  global
        .offset:         96
        .size:           8
        .value_kind:     global_buffer
    .group_segment_fixed_size: 10816
    .kernarg_segment_align: 8
    .kernarg_segment_size: 104
    .language:       OpenCL C
    .language_version:
      - 2
      - 0
    .max_flat_workgroup_size: 52
    .name:           bluestein_single_fwd_len676_dim1_dp_op_CI_CI
    .private_segment_fixed_size: 52
    .sgpr_count:     56
    .sgpr_spill_count: 0
    .symbol:         bluestein_single_fwd_len676_dim1_dp_op_CI_CI.kd
    .uniform_work_group_size: 1
    .uses_dynamic_stack: false
    .vgpr_count:     255
    .vgpr_spill_count: 12
    .wavefront_size: 64
amdhsa.target:   amdgcn-amd-amdhsa--gfx906
amdhsa.version:
  - 1
  - 2
...

	.end_amdgpu_metadata
